;; amdgpu-corpus repo=zjin-lcf/HeCBench kind=compiled arch=gfx1250 opt=O3
	.amdgcn_target "amdgcn-amd-amdhsa--gfx1250"
	.amdhsa_code_object_version 6
	.text
	.protected	_Z9secp256k1PK20secp256k1_ge_storagePh ; -- Begin function _Z9secp256k1PK20secp256k1_ge_storagePh
	.globl	_Z9secp256k1PK20secp256k1_ge_storagePh
	.p2align	8
	.type	_Z9secp256k1PK20secp256k1_ge_storagePh,@function
_Z9secp256k1PK20secp256k1_ge_storagePh: ; @_Z9secp256k1PK20secp256k1_ge_storagePh
; %bb.0:
	s_load_b128 s[20:23], s[0:1], 0x0
                                        ; implicit-def: $vgpr19 : SGPR spill to VGPR lane
	s_mov_b32 s85, 0
	s_mov_b32 s76, 1
	;; [unrolled: 1-line block ×3, first 2 shown]
	s_mov_b64 s[46:47], 0
	s_mov_b32 s60, s85
	s_mov_b32 s68, s85
	;; [unrolled: 1-line block ×15, first 2 shown]
	s_wait_kmcnt 0x0
	s_clause 0x3
	s_load_b64 s[12:13], s[20:21], 0x0
	s_load_b256 s[4:11], s[20:21], 0x4
	s_load_b64 s[14:15], s[20:21], 0x24
	s_load_b128 s[0:3], s[20:21], 0x28
	s_wait_xcnt 0x0
	v_writelane_b32 v19, s20, 0
	s_load_b64 s[16:17], s[20:21], 0x38
	s_mov_b64 s[88:89], 0
	v_writelane_b32 v19, s21, 1
	v_writelane_b32 v19, s22, 2
	;; [unrolled: 1-line block ×3, first 2 shown]
	s_wait_kmcnt 0x0
	s_and_b32 s69, s12, 0x3ffffff
	s_lshl_b32 s19, s5, 12
	s_lshl_b32 s18, s4, 6
	s_lshr_b32 s21, s6, 8
	s_lshr_b32 s20, s5, 14
	s_lshl_b32 s5, s7, 24
	s_lshl_b32 s4, s6, 18
	s_bfe_u32 s64, s7, 0x1a0002
	s_lshr_b32 s22, s7, 28
	s_lshl_b32 s7, s9, 10
	s_lshl_b32 s6, s8, 4
	s_lshr_b32 s23, s8, 22
	s_and_b64 s[6:7], s[6:7], 0x3fffc0003fffff0
	s_lshr_b32 s25, s11, 26
	s_lshr_b32 s24, s9, 16
	;; [unrolled: 1-line block ×3, first 2 shown]
	s_and_b32 s65, s11, 0x3ffffff
	s_lshl_b32 s9, s14, 6
	s_lshl_b32 s8, s10, 16
	s_lshr_b32 s11, s15, 14
	s_lshr_b32 s10, s14, 20
	s_lshl_b32 s15, s1, 18
	s_lshl_b32 s14, s0, 12
	s_lshr_b32 s28, s1, 8
	s_lshl_b32 s1, s3, 4
	s_lshl_b32 s0, s2, 24
	s_and_b64 s[4:5], s[4:5], 0x300000003fc0000
	s_or_b64 s[22:23], s[6:7], s[22:23]
	s_lshl_b32 s7, s17, 16
	s_lshl_b32 s6, s16, 10
	s_lshr_b32 s13, s13, 20
	s_lshr_b32 s12, s12, 26
	;; [unrolled: 1-line block ×3, first 2 shown]
	s_bfe_u32 s33, s2, 0x1a0002
	s_and_b64 s[18:19], s[18:19], 0x3fff00003ffffc0
	s_and_b64 s[8:9], s[8:9], 0x3ffffc003ff0000
	;; [unrolled: 1-line block ×4, first 2 shown]
	s_or_b64 s[26:27], s[4:5], s[20:21]
	s_lshr_b32 s5, s16, 16
	s_lshr_b32 s4, s3, 22
	s_and_b64 s[2:3], s[6:7], 0x3ff000003fffc00
	s_or_b64 s[38:39], s[18:19], s[12:13]
	s_or_b64 s[30:31], s[8:9], s[24:25]
	;; [unrolled: 1-line block ×5, first 2 shown]
	s_lshr_b32 s81, s17, 10
	s_mov_b64 s[4:5], 0
	s_mov_b64 s[8:9], 0
.LBB0_1:                                ; =>This Inner Loop Header: Depth=1
                                        ; implicit-def: $vgpr18 : SGPR spill to VGPR lane
	v_writelane_b32 v19, s72, 28
	v_writelane_b32 v18, s88, 16
                                        ; implicit-def: $vgpr17 : SGPR spill to VGPR lane
	s_mov_b32 s101, s85
	v_writelane_b32 v17, s86, 22
	s_mov_b32 s95, s85
	v_writelane_b32 v19, s73, 29
	v_writelane_b32 v18, s89, 17
	s_mov_b32 s97, s85
	v_writelane_b32 v17, s81, 10
	s_mov_b32 s83, s85
	v_writelane_b32 v19, s70, 26
	v_writelane_b32 v18, s76, 6
	s_mov_b32 s21, s85
	v_writelane_b32 v17, s40, 0
	s_lshl_b32 s84, s90, 1
	v_writelane_b32 v19, s71, 27
	v_writelane_b32 v18, s77, 7
	s_mov_b32 s53, s85
	v_writelane_b32 v17, s41, 1
	s_mov_b32 s93, s85
	v_writelane_b32 v19, s68, 30
	v_writelane_b32 v18, s74, 8
	s_mov_b32 s63, s85
	v_writelane_b32 v17, s8, 6
	s_mov_b32 s99, s85
	v_writelane_b32 v19, s69, 31
	v_writelane_b32 v18, s75, 9
	s_mov_b32 s91, s85
	v_writelane_b32 v17, s9, 7
	s_mov_b32 vcc_hi, s85
	v_readlane_b32 s0, v19, 0
	v_writelane_b32 v18, s66, 4
	v_readlane_b32 s1, v19, 1
	v_readlane_b32 s2, v19, 2
	;; [unrolled: 1-line block ×3, first 2 shown]
	v_writelane_b32 v19, s100, 10
	v_writelane_b32 v18, s67, 5
	s_lshl_b32 s20, s100, 1
                                        ; implicit-def: $vgpr16 : SGPR spill to VGPR lane
	s_mov_b32 s103, s85
                                        ; implicit-def: $vgpr15 : SGPR spill to VGPR lane
                                        ; implicit-def: $vgpr14 : SGPR spill to VGPR lane
	v_writelane_b32 v19, s101, 11
	v_writelane_b32 v18, s46, 2
	;; [unrolled: 1-line block ×4, first 2 shown]
	s_mul_u64 s[54:55], s[94:95], s[94:95]
	v_writelane_b32 v19, s95, 17
	v_writelane_b32 v18, s60, 0
	;; [unrolled: 1-line block ×4, first 2 shown]
	s_lshl_b32 s52, s96, 1
	v_writelane_b32 v19, s97, 5
	v_writelane_b32 v18, s4, 12
	s_add_nc_u64 s[16:17], s[0:1], s[4:5]
	v_writelane_b32 v19, s82, 14
	v_writelane_b32 v18, s5, 13
	s_load_b512 s[0:15], s[16:17], 0x40
	v_writelane_b32 v19, s83, 15
	s_wait_kmcnt 0x0
	v_alignbit_b32 v10, s2, s1, 20
	v_alignbit_b32 v8, s3, s2, 14
	;; [unrolled: 1-line block ×3, first 2 shown]
	s_mov_b32 s2, s62
	v_alignbit_b32 v5, s6, s5, 22
	v_alignbit_b32 v4, s7, s6, 16
	s_and_b32 s80, s8, 0x3ffffff
	v_alignbit_b32 v13, s9, s8, 26
	v_alignbit_b32 v11, s10, s9, 20
	v_alignbit_b32 v3, s12, s11, 8
	v_alignbit_b32 v2, s13, s12, 28
	v_alignbit_b32 v1, s14, s13, 22
	s_bfe_u32 s6, s12, 0x1a0002
	s_lshl_b32 s8, s92, 1
	s_mov_b32 s9, s85
	s_mov_b32 s3, s85
	s_lshl_b32 s12, s98, 1
	s_mov_b32 s13, s85
	s_bfe_u32 s46, s4, 0x1a0002
	v_alignbit_b32 v6, s5, s4, 28
	v_alignbit_b32 v9, s11, s10, 14
	v_alignbit_b32 v0, s15, s14, 16
	s_lshr_b32 s4, s15, 10
	s_mul_u64 s[10:11], s[8:9], s[2:3]
	s_mul_u64 s[14:15], s[12:13], s[100:101]
	s_and_b32 vcc_lo, s0, 0x3ffffff
	v_alignbit_b32 v12, s1, s0, 26
	s_mov_b32 s0, s58
	s_mov_b32 s1, s85
	s_mul_u64 s[36:37], s[12:13], s[2:3]
	s_add_nc_u64 s[42:43], s[10:11], s[14:15]
	s_mul_u64 s[10:11], s[100:101], s[100:101]
	s_mul_u64 s[14:15], s[20:21], s[2:3]
	s_add_nc_u64 s[44:45], s[36:37], s[10:11]
	s_mul_u64 s[10:11], s[12:13], s[0:1]
	s_lshl_b32 s36, s62, 1
	s_add_nc_u64 s[50:51], s[10:11], s[14:15]
	s_mul_u64 s[10:11], s[20:21], s[0:1]
	s_mul_u64 s[14:15], s[2:3], s[2:3]
	s_mov_b32 s37, s85
	s_add_nc_u64 s[56:57], s[10:11], s[14:15]
	s_mul_u64 s[10:11], s[84:85], s[94:95]
	s_mul_u64 s[14:15], s[96:97], s[96:97]
	;; [unrolled: 1-line block ×3, first 2 shown]
	s_add_nc_u64 s[10:11], s[10:11], s[14:15]
	s_mul_u64 s[14:15], s[20:21], s[82:83]
	v_writelane_b32 v19, s92, 12
	s_add_nc_u64 s[58:59], s[14:15], s[40:41]
	s_mul_u64 s[14:15], s[84:85], s[92:93]
	s_mul_u64 s[40:41], s[52:53], s[94:95]
	;; [unrolled: 1-line block ×3, first 2 shown]
	s_add_nc_u64 s[14:15], s[14:15], s[40:41]
	s_mul_u64 s[40:41], s[36:37], s[82:83]
	v_writelane_b32 v19, s93, 13
	s_add_nc_u64 s[48:49], s[40:41], s[48:49]
	s_mul_u64 s[40:41], s[52:53], s[92:93]
	s_mul_u64 s[36:37], s[88:89], s[36:37]
	s_add_nc_u64 s[54:55], s[40:41], s[54:55]
	s_lshl_b32 s40, s0, 1
	s_mov_b32 s41, s85
	s_lshl_b32 s62, s94, 1
	s_mul_u64 s[60:61], s[40:41], s[82:83]
	v_writelane_b32 v19, s98, 20
	s_add_nc_u64 s[36:37], s[36:37], s[60:61]
	s_mul_u64 s[60:61], s[52:53], s[98:99]
	s_mul_u64 s[66:67], s[62:63], s[92:93]
	;; [unrolled: 1-line block ×3, first 2 shown]
	s_add_nc_u64 s[70:71], s[60:61], s[66:67]
	s_mul_u64 s[60:61], s[82:83], s[82:83]
	s_mul_u64 s[66:67], s[92:93], s[92:93]
	s_add_nc_u64 s[40:41], s[40:41], s[60:61]
	s_mul_u64 s[60:61], s[62:63], s[98:99]
	v_writelane_b32 v19, s99, 21
	s_add_nc_u64 s[72:73], s[60:61], s[66:67]
	s_mul_u64 s[60:61], s[62:63], s[100:101]
	s_mul_u64 s[66:67], s[8:9], s[98:99]
	v_writelane_b32 v18, s4, 30
	s_add_nc_u64 s[74:75], s[60:61], s[66:67]
	s_mul_u64 s[60:61], s[8:9], s[100:101]
	s_mul_u64 s[66:67], s[98:99], s[98:99]
	s_lshr_b32 s18, s7, 10
	s_add_nc_u64 s[76:77], s[60:61], s[66:67]
	s_mul_u64 s[60:61], s[62:63], s[0:1]
	v_writelane_b32 v18, s5, 31
	s_add_nc_u64 s[42:43], s[42:43], s[60:61]
	s_mul_u64 s[60:61], s[8:9], s[0:1]
	s_mov_b64 s[4:5], s[0:1]
	s_add_nc_u64 s[44:45], s[44:45], s[60:61]
	s_mul_u64 s[60:61], s[8:9], s[82:83]
	s_mul_u64 s[8:9], s[88:89], s[8:9]
	s_add_nc_u64 s[50:51], s[50:51], s[60:61]
	s_mul_u64 s[60:61], s[12:13], s[82:83]
	s_mul_u64 s[12:13], s[88:89], s[12:13]
	s_add_nc_u64 s[78:79], s[56:57], s[60:61]
	s_add_nc_u64 s[66:67], s[58:59], s[12:13]
	s_mul_u64 s[12:13], s[88:89], s[20:21]
	s_mul_u64 s[20:21], s[52:53], s[2:3]
	s_add_nc_u64 s[60:61], s[48:49], s[12:13]
	s_mul_u64 s[12:13], s[84:85], s[98:99]
	s_add_nc_u64 s[48:49], s[74:75], s[20:21]
	s_mul_u64 s[20:21], s[62:63], s[2:3]
	v_writelane_b32 v19, s2, 18
	s_add_nc_u64 s[58:59], s[54:55], s[12:13]
	s_mul_u64 s[12:13], s[84:85], s[100:101]
	s_add_nc_u64 s[54:55], s[76:77], s[20:21]
	s_add_nc_u64 s[0:1], s[70:71], s[12:13]
	s_mul_u64 s[12:13], s[52:53], s[100:101]
	s_mul_u64 s[20:21], s[52:53], s[82:83]
	v_writelane_b32 v19, s3, 19
	s_add_nc_u64 s[12:13], s[72:73], s[12:13]
	s_add_nc_u64 s[72:73], s[42:43], s[20:21]
	s_mul_u64 s[20:21], s[62:63], s[82:83]
	s_delay_alu instid0(SALU_CYCLE_1)
	s_add_nc_u64 s[74:75], s[44:45], s[20:21]
	s_mul_u64 s[20:21], s[88:89], s[62:63]
	v_writelane_b32 v19, s4, 6
	s_add_nc_u64 s[70:71], s[50:51], s[20:21]
	s_add_nc_u64 s[20:21], s[78:79], s[8:9]
	s_mul_u64 s[8:9], s[84:85], s[2:3]
	s_lshr_b32 s2, s86, 22
	v_writelane_b32 v19, s5, 7
	s_mul_i32 s3, s2, 0x3d1
	s_lshl_b32 s2, s2, 6
	s_add_co_i32 s3, s69, s3
	s_add_co_i32 s2, s38, s2
	v_writelane_b32 v17, s3, 4
	s_lshr_b32 s3, s3, 26
	s_add_nc_u64 s[44:45], s[12:13], s[8:9]
	s_add_co_i32 s2, s2, s3
	s_mul_u64 s[8:9], s[84:85], s[4:5]
	v_writelane_b32 v19, s2, 24
	s_lshr_b32 s2, s2, 26
	s_add_nc_u64 s[42:43], s[48:49], s[8:9]
	s_mul_u64 s[8:9], s[52:53], s[4:5]
	s_add_co_i32 s4, s2, s39
	s_lshr_b32 s2, s81, 22
	s_add_nc_u64 s[12:13], s[54:55], s[8:9]
	s_mul_i32 s3, s2, 0x3d1
	s_lshl_b32 s2, s2, 6
	s_add_co_i32 s3, s65, s3
	s_add_co_i32 s2, s31, s2
	v_writelane_b32 v17, s3, 16
	s_lshr_b32 s3, s3, 26
	s_mul_u64 s[8:9], s[88:89], s[84:85]
	s_add_co_i32 s2, s2, s3
	s_add_nc_u64 s[8:9], s[72:73], s[8:9]
	v_writelane_b32 v17, s2, 18
	s_lshr_b32 s2, s2, 26
	s_mul_u64 s[48:49], s[88:89], s[52:53]
	s_add_co_i32 s2, s2, s34
	s_add_nc_u64 s[48:49], s[74:75], s[48:49]
	s_lshr_b64 s[38:39], s[8:9], 26
	v_writelane_b32 v17, s2, 8
	s_lshr_b32 s2, s2, 26
	v_writelane_b32 v18, s4, 24
	s_add_nc_u64 s[38:39], s[48:49], s[38:39]
	s_add_co_i32 s3, s2, s35
	s_lshr_b32 s2, s4, 26
	s_mul_u64 s[50:51], s[84:85], s[82:83]
	s_lshr_b64 s[34:35], s[38:39], 26
	s_and_b32 s38, s38, 0x3ffffff
	s_mov_b32 s39, s85
	s_add_co_i32 s2, s2, s26
	s_add_nc_u64 s[12:13], s[12:13], s[50:51]
	s_add_nc_u64 s[48:49], s[70:71], s[34:35]
	v_writelane_b32 v18, s90, 14
	s_mul_u64 s[34:35], s[90:91], s[90:91]
	s_mul_u64 s[50:51], s[38:39], 0x3d10
	v_writelane_b32 v17, s2, 2
	s_lshr_b32 s2, s2, 26
	s_add_nc_u64 s[56:57], s[50:51], s[34:35]
	s_lshl_b64 s[38:39], s[38:39], 10
	s_mul_u64 s[50:51], s[84:85], s[96:97]
	s_add_co_i32 s4, s2, s27
	s_lshr_b64 s[26:27], s[48:49], 26
	s_add_nc_u64 s[38:39], s[38:39], s[50:51]
	s_add_nc_u64 s[20:21], s[20:21], s[26:27]
	s_lshr_b64 s[26:27], s[56:57], 26
	v_writelane_b32 v18, s91, 15
	s_add_nc_u64 s[26:27], s[38:39], s[26:27]
	s_and_b32 s38, s48, 0x3ffffff
	s_mov_b32 s39, s85
	v_writelane_b32 v19, s3, 22
	s_lshl_b64 s[48:49], s[38:39], 10
	s_mul_u64 s[38:39], s[38:39], 0x3d10
	s_lshr_b32 s2, s3, 26
	s_add_nc_u64 s[38:39], s[26:27], s[38:39]
	s_lshr_b64 s[26:27], s[20:21], 26
	s_and_b32 s20, s20, 0x3ffffff
	s_mov_b32 s21, s85
	s_add_nc_u64 s[10:11], s[10:11], s[48:49]
	s_mul_u64 s[48:49], s[20:21], 0x3d10
	s_lshl_b64 s[20:21], s[20:21], 10
	s_add_co_i32 s2, s2, s28
	s_lshr_b32 s104, s4, 26
	v_writelane_b32 v18, s4, 28
	s_add_nc_u64 s[10:11], s[10:11], s[48:49]
	s_add_nc_u64 s[20:21], s[14:15], s[20:21]
	s_lshr_b64 s[14:15], s[38:39], 26
	v_writelane_b32 v19, s2, 8
	s_lshr_b32 s2, s2, 26
	s_add_co_i32 s104, s104, s64
	s_add_nc_u64 s[14:15], s[10:11], s[14:15]
	s_add_nc_u64 s[26:27], s[66:67], s[26:27]
	s_add_co_i32 s2, s2, s33
	s_lshr_b32 s33, s104, 26
	v_writelane_b32 v17, s14, 24
	v_writelane_b32 v18, s2, 18
	s_lshr_b32 s2, s2, 26
	s_lshr_b64 s[10:11], s[26:27], 26
	s_and_b32 s26, s26, 0x3ffffff
	s_mov_b32 s27, s85
	s_add_co_i32 s33, s33, s22
	s_add_co_i32 s3, s2, s29
	s_mul_u64 s[28:29], s[26:27], 0x3d10
	s_lshr_b32 s2, s33, 26
	v_writelane_b32 v17, s15, 25
	s_add_nc_u64 s[10:11], s[60:61], s[10:11]
	s_add_nc_u64 s[20:21], s[20:21], s[28:29]
	s_add_co_i32 s2, s2, s23
	s_lshr_b64 s[22:23], s[14:15], 26
	v_writelane_b32 v17, s2, 14
	s_add_nc_u64 s[22:23], s[20:21], s[22:23]
	s_lshr_b64 s[20:21], s[10:11], 26
	s_and_b32 s10, s10, 0x3ffffff
	s_mov_b32 s11, s85
	v_writelane_b32 v18, s3, 22
	s_mul_u64 s[28:29], s[10:11], 0x3d10
	s_lshl_b64 s[10:11], s[10:11], 10
	s_lshl_b64 s[26:27], s[26:27], 10
	s_add_nc_u64 s[10:11], s[0:1], s[10:11]
	s_lshr_b32 s0, s2, 26
	s_add_nc_u64 s[26:27], s[58:59], s[26:27]
	s_add_co_i32 s0, s0, s30
	s_add_nc_u64 s[20:21], s[36:37], s[20:21]
	v_writelane_b32 v17, s0, 12
	s_lshr_b32 s0, s3, 26
	s_add_nc_u64 s[26:27], s[26:27], s[28:29]
	s_add_co_i32 s0, s0, s24
	s_and_b32 s34, s22, 0x3ffffff
	v_writelane_b32 v18, s0, 20
	s_lshr_b32 s0, s0, 26
	s_mov_b32 s35, s85
	s_add_co_i32 s0, s0, s25
	s_lshr_b64 s[24:25], s[22:23], 26
	v_writelane_b32 v18, s0, 26
	s_add_nc_u64 s[24:25], s[26:27], s[24:25]
	s_lshr_b64 s[26:27], s[20:21], 26
	s_and_b32 s20, s20, 0x3ffffff
	s_mov_b32 s21, s85
	s_add_nc_u64 s[26:27], s[40:41], s[26:27]
	s_mul_u64 s[28:29], s[20:21], 0x3d10
	s_lshl_b64 s[20:21], s[20:21], 10
	s_add_nc_u64 s[10:11], s[10:11], s[28:29]
	s_add_nc_u64 s[28:29], s[44:45], s[20:21]
	s_lshr_b64 s[20:21], s[24:25], 26
	s_lshr_b64 s[30:31], s[26:27], 26
	s_add_nc_u64 s[20:21], s[10:11], s[20:21]
	s_lshl_b32 s10, s82, 1
	s_mov_b32 s11, s85
	v_readfirstlane_b32 s0, v12
	s_mul_u64 s[10:11], s[88:89], s[10:11]
	s_mov_b32 s71, s85
	s_add_nc_u64 s[36:37], s[30:31], s[10:11]
	s_and_b32 s10, s26, 0x3ffffff
	s_mov_b32 s11, s85
	s_and_b32 s70, s0, 0x3ffffff
	s_mul_u64 s[26:27], s[10:11], 0x3d10
	s_mul_u64 s[22:23], s[34:35], s[70:71]
	s_add_nc_u64 s[44:45], s[28:29], s[26:27]
	s_and_b32 s28, s24, 0x3ffffff
	s_mov_b32 s29, s85
	s_lshl_b64 s[10:11], s[10:11], 10
	s_mul_u64 s[26:27], s[28:29], vcc
	s_mov_b32 s81, s85
	s_add_nc_u64 s[0:1], s[22:23], s[26:27]
	s_mov_b32 s27, s85
	v_writelane_b32 v17, s0, 28
	s_add_nc_u64 s[40:41], s[42:43], s[10:11]
	s_mul_u64 s[42:43], s[28:29], s[80:81]
	s_lshr_b64 s[48:49], s[36:37], 26
	s_and_b32 s36, s36, 0x3ffffff
	v_writelane_b32 v17, s1, 29
	v_readfirstlane_b32 s0, v13
	s_mov_b32 s37, s85
	s_and_b32 s58, s20, 0x3ffffff
	s_mov_b32 s59, s85
	s_mov_b32 s2, s46
	s_and_b32 s26, s0, 0x3ffffff
	s_and_b32 s38, s38, 0x3ffffff
	s_mul_u64 s[30:31], s[34:35], s[26:27]
	s_delay_alu instid0(SALU_CYCLE_1)
	s_add_nc_u64 s[0:1], s[30:31], s[42:43]
	s_lshr_b64 s[42:43], s[20:21], 26
	v_writelane_b32 v17, s0, 26
	s_add_nc_u64 s[42:43], s[44:45], s[42:43]
	s_mul_u64 s[44:45], s[88:89], s[88:89]
	s_mul_u64 s[20:21], s[58:59], vcc
	s_add_nc_u64 s[44:45], s[48:49], s[44:45]
	s_mul_u64 s[48:49], s[36:37], 0x3d10
	s_lshl_b64 s[36:37], s[36:37], 10
	s_add_nc_u64 s[40:41], s[40:41], s[48:49]
	s_add_nc_u64 s[48:49], s[12:13], s[36:37]
	s_mul_u64 s[12:13], s[28:29], s[70:71]
	v_writelane_b32 v17, s1, 27
	v_readfirstlane_b32 s0, v10
	s_add_nc_u64 s[12:13], s[12:13], s[20:21]
	s_mul_u64 s[20:21], s[28:29], s[26:27]
	s_mul_u64 s[36:37], s[58:59], s[80:81]
	s_and_b32 s84, s44, 0x3ffffff
	s_add_nc_u64 s[20:21], s[20:21], s[36:37]
	s_lshr_b64 s[36:37], s[42:43], 26
	s_and_b32 s66, s42, 0x3ffffff
	s_add_nc_u64 s[52:53], s[40:41], s[36:37]
	s_and_b32 s36, s0, 0x3ffffff
	s_mov_b32 s37, s85
	v_writelane_b32 v18, s84, 10
	s_mul_u64 s[40:41], s[34:35], s[36:37]
	s_mov_b32 s67, s85
	s_add_nc_u64 s[0:1], s[12:13], s[40:41]
	s_mul_u64 s[42:43], s[58:59], s[70:71]
	v_writelane_b32 v16, s0, 0
	s_mul_u64 s[50:51], s[66:67], s[80:81]
	s_mov_b32 s69, s85
	s_and_b32 s64, s52, 0x3ffffff
	s_mov_b32 s65, s85
	v_writelane_b32 v16, s1, 1
	v_readfirstlane_b32 s0, v11
	v_writelane_b32 v18, s85, 11
	s_mov_b32 s3, s85
	s_mov_b64 s[30:31], s[80:81]
	s_mov_b32 s77, s85
	s_and_b32 s102, s0, 0x3ffffff
	s_mov_b32 s79, s85
	s_mul_u64 s[40:41], s[34:35], s[102:103]
	v_readlane_b32 s12, v18, 10
	s_add_nc_u64 s[0:1], s[20:21], s[40:41]
	s_mul_u64 s[20:21], s[84:85], 0x3d10
	v_writelane_b32 v17, s0, 20
	s_add_nc_u64 s[20:21], s[48:49], s[20:21]
	s_and_b64 s[48:49], s[8:9], 0x3ffffff
	s_lshr_b64 s[8:9], s[44:45], 26
	v_readlane_b32 s13, v18, 11
	s_mul_u64 s[44:45], s[8:9], 0x3d10
	v_writelane_b32 v17, s1, 21
	s_add_nc_u64 s[44:45], s[44:45], s[48:49]
	s_mul_u64 s[48:49], s[66:67], vcc
	v_readfirstlane_b32 s0, v8
	s_add_nc_u64 s[42:43], s[42:43], s[48:49]
	s_mul_u64 s[48:49], s[58:59], s[26:27]
	s_lshl_b64 s[8:9], s[8:9], 14
	s_add_nc_u64 s[48:49], s[48:49], s[50:51]
	s_lshr_b64 s[50:51], s[52:53], 26
	s_mul_u64 s[52:53], s[64:65], vcc
	s_add_nc_u64 s[20:21], s[20:21], s[50:51]
	s_lshl_b64 s[50:51], s[84:85], 10
	v_readlane_b32 s10, v18, 30
	s_add_nc_u64 s[54:55], s[44:45], s[50:51]
	s_mul_u64 s[44:45], s[28:29], s[36:37]
	v_readlane_b32 s11, v18, 31
	s_add_nc_u64 s[42:43], s[42:43], s[44:45]
	s_mul_u64 s[44:45], s[28:29], s[102:103]
	v_readfirstlane_b32 s12, v0
	s_add_nc_u64 s[48:49], s[48:49], s[44:45]
	s_and_b32 s44, s0, 0x3ffffff
	s_mov_b32 s45, s85
	s_mov_b32 s11, s13
	s_mul_u64 s[50:51], s[34:35], s[44:45]
	s_delay_alu instid0(SALU_CYCLE_1)
	s_add_nc_u64 s[0:1], s[42:43], s[50:51]
	s_mul_u64 s[42:43], s[66:67], s[70:71]
	v_writelane_b32 v16, s0, 14
	s_add_nc_u64 s[52:53], s[42:43], s[52:53]
	v_readlane_b32 s42, v18, 10
	v_readlane_b32 s43, v18, 11
	s_mov_b32 s42, s6
	v_writelane_b32 v16, s1, 15
	v_readfirstlane_b32 s0, v9
	s_and_b32 s68, s0, 0x3ffffff
	s_delay_alu instid0(SALU_CYCLE_1) | instskip(NEXT) | instid1(SALU_CYCLE_1)
	s_mul_u64 s[60:61], s[34:35], s[68:69]
	s_add_nc_u64 s[50:51], s[48:49], s[60:61]
	s_mul_u64 s[48:49], s[66:67], s[26:27]
	s_mul_u64 s[60:61], s[64:65], s[80:81]
	s_delay_alu instid0(SALU_CYCLE_1) | instskip(SKIP_1) | instid1(SALU_CYCLE_1)
	s_add_nc_u64 s[48:49], s[48:49], s[60:61]
	s_lshr_b64 s[60:61], s[20:21], 26
	s_add_nc_u64 s[54:55], s[54:55], s[60:61]
	s_mul_u64 s[60:61], s[58:59], s[36:37]
	s_and_b64 s[82:83], s[54:55], 0x3fffff
	s_add_nc_u64 s[52:53], s[52:53], s[60:61]
	s_mul_u64 s[60:61], s[58:59], s[102:103]
	s_delay_alu instid0(SALU_CYCLE_1) | instskip(SKIP_1) | instid1(SALU_CYCLE_1)
	s_add_nc_u64 s[48:49], s[48:49], s[60:61]
	s_mul_u64 s[60:61], s[28:29], s[44:45]
	s_add_nc_u64 s[0:1], s[52:53], s[60:61]
	s_and_b32 s52, s20, 0x3ffffff
	v_writelane_b32 v16, s0, 2
	s_mov_b32 s53, s85
	s_mul_u64 s[20:21], s[64:65], s[70:71]
	s_mul_u64 s[60:61], s[52:53], vcc
	s_mov_b64 s[84:85], s[2:3]
	v_writelane_b32 v16, s1, 3
	s_add_nc_u64 s[20:21], s[20:21], s[60:61]
	s_mul_u64 s[60:61], s[28:29], s[68:69]
	s_delay_alu instid0(SALU_CYCLE_1)
	s_add_nc_u64 s[0:1], s[48:49], s[60:61]
	s_mul_u64 s[48:49], s[64:65], s[26:27]
	v_writelane_b32 v16, s0, 10
	s_mul_u64 s[60:61], s[52:53], s[80:81]
	v_readlane_b32 s80, v18, 10
	s_add_nc_u64 s[48:49], s[48:49], s[60:61]
	s_lshr_b64 s[60:61], s[54:55], 22
	v_writelane_b32 v16, s1, 11
	v_readfirstlane_b32 s0, v7
	s_add_nc_u64 s[62:63], s[60:61], s[8:9]
	s_mul_u64 s[8:9], s[66:67], s[36:37]
	v_readlane_b32 s81, v18, 11
	s_add_nc_u64 s[60:61], s[20:21], s[8:9]
	s_and_b32 s76, s0, 0x3ffffff
	v_readfirstlane_b32 s0, v6
	s_mul_u64 s[8:9], s[66:67], s[102:103]
	s_mul_u64 s[20:21], s[82:83], vcc
	s_add_nc_u64 s[48:49], s[48:49], s[8:9]
	s_mul_u64 s[8:9], s[52:53], s[70:71]
	s_and_b32 s78, s0, 0x3ffffff
	v_readfirstlane_b32 s0, v5
	s_add_nc_u64 s[54:55], s[8:9], s[20:21]
	s_mul_u64 s[8:9], s[52:53], s[36:37]
	s_mul_u64 s[20:21], s[82:83], s[70:71]
	s_mov_b32 s80, s18
	s_add_nc_u64 s[72:73], s[8:9], s[20:21]
	s_mul_u64 s[8:9], s[52:53], s[44:45]
	s_mul_u64 s[20:21], s[82:83], s[36:37]
	s_and_b32 s74, s0, 0x3ffffff
	s_add_nc_u64 s[88:89], s[8:9], s[20:21]
	s_mul_u64 s[8:9], s[64:65], s[2:3]
	s_mul_u64 s[20:21], s[82:83], s[44:45]
	v_readlane_b32 s0, v18, 10
	v_readlane_b32 s1, v18, 11
	s_add_nc_u64 s[90:91], s[8:9], s[20:21]
	s_mul_u64 s[8:9], s[52:53], s[2:3]
	s_mul_u64 s[20:21], s[82:83], s[76:77]
	v_readfirstlane_b32 s0, v4
	s_add_nc_u64 s[98:99], s[20:21], s[8:9]
	s_mul_u64 s[8:9], s[52:53], s[78:79]
	s_mul_u64 s[20:21], s[82:83], s[2:3]
	s_mov_b32 s75, s1
	s_add_nc_u64 s[100:101], s[8:9], s[20:21]
	s_mul_u64 s[8:9], s[66:67], s[80:81]
	s_mul_u64 s[20:21], s[82:83], s[78:79]
	s_delay_alu instid0(SALU_CYCLE_1) | instskip(SKIP_2) | instid1(SALU_CYCLE_1)
	s_add_nc_u64 s[24:25], s[8:9], s[20:21]
	s_mul_u64 s[8:9], s[64:65], s[80:81]
	s_mul_u64 s[20:21], s[82:83], s[74:75]
	s_add_nc_u64 s[22:23], s[20:21], s[8:9]
	s_and_b32 s20, s0, 0x3ffffff
	v_readlane_b32 s0, v18, 10
	v_readlane_b32 s1, v18, 11
	s_mul_u64 s[8:9], s[52:53], s[80:81]
	s_mov_b32 s21, s1
	s_delay_alu instid0(SALU_CYCLE_1) | instskip(NEXT) | instid1(SALU_CYCLE_1)
	s_mul_u64 s[86:87], s[82:83], s[20:21]
	s_add_nc_u64 s[0:1], s[86:87], s[8:9]
	s_mul_u64 s[86:87], s[58:59], s[44:45]
	v_writelane_b32 v17, s0, 30
	s_add_nc_u64 s[18:19], s[60:61], s[86:87]
	s_mul_u64 s[60:61], s[52:53], s[26:27]
	s_mul_u64 s[86:87], s[82:83], s[30:31]
	s_delay_alu instid0(SALU_CYCLE_1)
	s_add_nc_u64 s[16:17], s[60:61], s[86:87]
	s_mul_u64 s[60:61], s[52:53], s[102:103]
	s_mul_u64 s[86:87], s[82:83], s[26:27]
	v_writelane_b32 v17, s1, 31
	v_readfirstlane_b32 s0, v3
	s_add_nc_u64 s[14:15], s[60:61], s[86:87]
	s_mul_u64 s[60:61], s[52:53], s[68:69]
	s_mul_u64 s[86:87], s[82:83], s[102:103]
	s_delay_alu instid0(SALU_CYCLE_1) | instskip(SKIP_2) | instid1(SALU_CYCLE_1)
	s_add_nc_u64 s[8:9], s[60:61], s[86:87]
	s_mul_u64 s[60:61], s[64:65], s[42:43]
	s_mul_u64 s[86:87], s[82:83], s[68:69]
	s_add_nc_u64 s[6:7], s[60:61], s[86:87]
	s_and_b32 s86, s0, 0x3ffffff
	v_readlane_b32 s0, v18, 10
	v_readlane_b32 s1, v18, 11
	v_readfirstlane_b32 s0, v2
	s_mul_u64 s[60:61], s[52:53], s[42:43]
	s_mov_b32 s87, s1
	s_and_b32 s94, s0, 0x3ffffff
	v_readlane_b32 s0, v18, 10
	v_readlane_b32 s1, v18, 11
	v_readfirstlane_b32 s0, v1
	s_mul_u64 s[92:93], s[82:83], s[86:87]
	s_delay_alu instid0(SALU_CYCLE_1)
	s_add_nc_u64 s[4:5], s[92:93], s[60:61]
	s_mov_b32 s95, s1
	s_mul_u64 s[92:93], s[82:83], s[42:43]
	s_mul_u64 s[60:61], s[52:53], s[94:95]
	s_mul_u64 s[96:97], s[82:83], s[94:95]
	s_add_nc_u64 s[2:3], s[60:61], s[92:93]
	s_and_b32 s92, s0, 0x3ffffff
	v_readlane_b32 s0, v18, 10
	v_readlane_b32 s1, v18, 11
	s_mov_b32 s93, s1
	s_delay_alu instid0(SALU_CYCLE_1) | instskip(NEXT) | instid1(SALU_CYCLE_1)
	s_mul_u64 s[60:61], s[52:53], s[92:93]
	s_add_nc_u64 s[0:1], s[60:61], s[96:97]
	s_mul_u64 s[60:61], s[64:65], s[10:11]
	s_mul_u64 s[96:97], s[82:83], s[92:93]
	s_delay_alu instid0(SALU_CYCLE_1)
	s_add_nc_u64 s[46:47], s[60:61], s[96:97]
	s_and_b32 s96, s12, 0x3ffffff
	v_readlane_b32 s12, v18, 10
	v_readlane_b32 s13, v18, 11
	s_mul_u64 s[60:61], s[52:53], s[10:11]
	s_mov_b32 s97, s13
	s_delay_alu instid0(SALU_CYCLE_1) | instskip(NEXT) | instid1(SALU_CYCLE_1)
	s_mul_u64 s[40:41], s[82:83], s[96:97]
	s_add_nc_u64 s[12:13], s[40:41], s[60:61]
	s_mul_u64 s[40:41], s[58:59], s[68:69]
	v_writelane_b32 v18, s12, 30
	s_add_nc_u64 s[40:41], s[48:49], s[40:41]
	s_and_b32 s48, s56, 0x3ffffff
	s_mul_u64 s[56:57], s[62:63], 0x3d1
	v_writelane_b32 v18, s13, 31
	s_delay_alu instid0(VALU_DEP_1)
	v_readlane_b32 s12, v18, 10
	v_readlane_b32 s13, v18, 11
	s_mov_b32 s49, s13
	v_readlane_b32 s12, v18, 10
	v_readlane_b32 s13, v18, 11
	s_add_nc_u64 s[56:57], s[56:57], s[48:49]
	s_lshl_b64 s[48:49], s[62:63], 6
	s_mul_u64 s[62:63], s[66:67], s[84:85]
	s_mov_b32 s39, s13
	s_delay_alu instid0(SALU_CYCLE_1) | instskip(SKIP_1) | instid1(SALU_CYCLE_1)
	s_add_nc_u64 s[38:39], s[48:49], s[38:39]
	s_mul_u64 s[48:49], s[64:65], s[36:37]
	s_add_nc_u64 s[48:49], s[54:55], s[48:49]
	s_mul_u64 s[54:55], s[64:65], s[44:45]
	s_delay_alu instid0(SALU_CYCLE_1) | instskip(SKIP_2) | instid1(SALU_CYCLE_1)
	s_add_nc_u64 s[54:55], s[72:73], s[54:55]
	s_add_nc_u64 s[72:73], s[88:89], s[62:63]
	s_mul_u64 s[62:63], s[52:53], s[76:77]
	s_add_nc_u64 s[88:89], s[90:91], s[62:63]
	s_mul_u64 s[62:63], s[64:65], s[78:79]
	s_delay_alu instid0(SALU_CYCLE_1) | instskip(SKIP_1) | instid1(SALU_CYCLE_1)
	s_add_nc_u64 s[90:91], s[98:99], s[62:63]
	s_mul_u64 s[62:63], s[58:59], s[80:81]
	s_add_nc_u64 s[98:99], s[100:101], s[62:63]
	s_mul_u64 s[62:63], s[52:53], s[74:75]
	s_delay_alu instid0(SALU_CYCLE_1) | instskip(SKIP_1) | instid1(SALU_CYCLE_1)
	s_add_nc_u64 s[100:101], s[24:25], s[62:63]
	s_mul_u64 s[62:63], s[52:53], s[20:21]
	s_add_nc_u64 s[12:13], s[22:23], s[62:63]
	s_mul_u64 s[22:23], s[34:35], s[84:85]
	v_writelane_b32 v16, s12, 6
	s_add_nc_u64 s[18:19], s[18:19], s[22:23]
	s_mul_u64 s[22:23], s[64:65], s[102:103]
	s_delay_alu instid0(SALU_CYCLE_1) | instskip(SKIP_4) | instid1(SALU_CYCLE_1)
	s_add_nc_u64 s[16:17], s[16:17], s[22:23]
	s_mul_u64 s[22:23], s[64:65], s[68:69]
	v_writelane_b32 v16, s13, 7
	s_add_nc_u64 s[14:15], s[14:15], s[22:23]
	s_mul_u64 s[22:23], s[66:67], s[42:43]
	s_add_nc_u64 s[8:9], s[8:9], s[22:23]
	s_mul_u64 s[22:23], s[52:53], s[86:87]
	s_delay_alu instid0(SALU_CYCLE_1) | instskip(SKIP_1) | instid1(SALU_CYCLE_1)
	s_add_nc_u64 s[6:7], s[6:7], s[22:23]
	s_mul_u64 s[22:23], s[64:65], s[94:95]
	s_add_nc_u64 s[4:5], s[4:5], s[22:23]
	s_mul_u64 s[22:23], s[64:65], s[92:93]
	s_delay_alu instid0(SALU_CYCLE_1) | instskip(SKIP_1) | instid1(SALU_CYCLE_1)
	s_add_nc_u64 s[2:3], s[2:3], s[22:23]
	s_mul_u64 s[22:23], s[66:67], s[10:11]
	s_add_nc_u64 s[0:1], s[0:1], s[22:23]
	s_mul_u64 s[22:23], s[52:53], s[96:97]
	s_delay_alu instid0(SALU_CYCLE_1)
	s_add_nc_u64 s[12:13], s[46:47], s[22:23]
	s_mul_u64 s[22:23], s[34:35], s[42:43]
	s_mul_u64 s[46:47], s[58:59], s[84:85]
	s_add_nc_u64 s[22:23], s[40:41], s[22:23]
	s_mul_u64 s[40:41], s[66:67], s[44:45]
	s_add_nc_u64 s[46:47], s[54:55], s[46:47]
	s_add_nc_u64 s[40:41], s[48:49], s[40:41]
	s_mul_u64 s[48:49], s[64:65], s[76:77]
	v_writelane_b32 v16, s12, 8
	s_add_nc_u64 s[52:53], s[72:73], s[48:49]
	s_mul_u64 s[48:49], s[66:67], s[78:79]
	s_delay_alu instid0(SALU_CYCLE_1) | instskip(SKIP_4) | instid1(SALU_CYCLE_1)
	s_add_nc_u64 s[72:73], s[88:89], s[48:49]
	s_mul_u64 s[48:49], s[28:29], s[80:81]
	v_writelane_b32 v16, s13, 9
	s_add_nc_u64 s[90:91], s[90:91], s[48:49]
	s_mul_u64 s[48:49], s[64:65], s[74:75]
	s_add_nc_u64 s[98:99], s[98:99], s[48:49]
	s_mul_u64 s[48:49], s[64:65], s[20:21]
	s_delay_alu instid0(SALU_CYCLE_1) | instskip(SKIP_1) | instid1(SALU_CYCLE_1)
	s_add_nc_u64 s[88:89], s[100:101], s[48:49]
	s_mul_u64 s[48:49], s[28:29], s[76:77]
	s_add_nc_u64 s[54:55], s[18:19], s[48:49]
	s_mul_u64 s[18:19], s[66:67], s[68:69]
	s_delay_alu instid0(SALU_CYCLE_1) | instskip(SKIP_1) | instid1(SALU_CYCLE_1)
	;; [unrolled: 5-line block ×4, first 2 shown]
	s_add_nc_u64 s[4:5], s[4:5], s[8:9]
	s_mul_u64 s[8:9], s[58:59], s[10:11]
	s_add_nc_u64 s[2:3], s[2:3], s[8:9]
	s_mul_u64 s[8:9], s[64:65], s[96:97]
	s_delay_alu instid0(SALU_CYCLE_1) | instskip(NEXT) | instid1(SALU_CYCLE_1)
	s_add_nc_u64 s[0:1], s[0:1], s[8:9]
	v_writelane_b32 v16, s0, 4
	v_writelane_b32 v16, s1, 5
	s_mul_u64 s[0:1], s[28:29], s[86:87]
	s_delay_alu instid0(SALU_CYCLE_1)
	s_add_nc_u64 s[48:49], s[22:23], s[0:1]
	v_readlane_b32 s0, v18, 10
	s_and_b32 s0, s56, 0x3ffffff
	v_readlane_b32 s1, v18, 11
	v_writelane_b32 v18, s0, 10
	s_mul_u64 s[22:23], s[28:29], s[84:85]
	s_delay_alu instid0(SALU_CYCLE_1)
	s_add_nc_u64 s[22:23], s[40:41], s[22:23]
	s_mul_u64 s[40:41], s[58:59], s[78:79]
	v_writelane_b32 v18, s1, 11
	s_lshr_b64 s[0:1], s[56:57], 26
	s_mul_u64 s[56:57], s[66:67], s[20:21]
	s_add_nc_u64 s[0:1], s[38:39], s[0:1]
	s_add_nc_u64 s[98:99], s[98:99], s[56:57]
	s_mul_u64 s[56:57], s[28:29], s[42:43]
	s_mul_u64 s[38:39], s[66:67], s[76:77]
	s_add_nc_u64 s[16:17], s[16:17], s[56:57]
	s_mul_u64 s[56:57], s[66:67], s[86:87]
	s_add_nc_u64 s[38:39], s[46:47], s[38:39]
	s_add_nc_u64 s[14:15], s[14:15], s[56:57]
	s_mul_u64 s[56:57], s[58:59], s[94:95]
	s_add_nc_u64 s[40:41], s[52:53], s[40:41]
	s_add_nc_u64 s[18:19], s[18:19], s[56:57]
	s_mul_u64 s[56:57], s[58:59], s[92:93]
	s_mul_u64 s[46:47], s[58:59], s[74:75]
	s_add_nc_u64 s[6:7], s[6:7], s[56:57]
	s_mul_u64 s[56:57], s[28:29], s[10:11]
	s_add_nc_u64 s[46:47], s[72:73], s[46:47]
	s_add_nc_u64 s[4:5], s[4:5], s[56:57]
	s_mul_u64 s[56:57], s[66:67], s[96:97]
	s_mul_u64 s[52:53], s[66:67], s[74:75]
	s_add_nc_u64 s[64:65], s[2:3], s[56:57]
	s_mul_u64 s[2:3], s[58:59], s[76:77]
	s_add_nc_u64 s[52:53], s[90:91], s[52:53]
	s_add_nc_u64 s[2:3], s[22:23], s[2:3]
	s_mul_u64 s[22:23], s[28:29], s[78:79]
	v_readlane_b32 s8, v18, 10
	s_add_nc_u64 s[22:23], s[38:39], s[22:23]
	s_mul_u64 s[38:39], s[28:29], s[74:75]
	v_readlane_b32 s9, v18, 11
	s_add_nc_u64 s[40:41], s[40:41], s[38:39]
	s_mul_u64 s[38:39], s[34:35], s[80:81]
	s_lshr_b64 s[56:57], s[0:1], 26
	s_add_nc_u64 s[46:47], s[46:47], s[38:39]
	s_mul_u64 s[38:39], s[58:59], s[20:21]
	s_and_b32 s100, s0, 0x3ffffff
	s_add_nc_u64 s[60:61], s[52:53], s[38:39]
	s_mul_u64 s[52:53], s[58:59], s[86:87]
	v_readlane_b32 s0, v18, 10
	s_add_nc_u64 s[16:17], s[16:17], s[52:53]
	s_mul_u64 s[52:53], s[28:29], s[94:95]
	v_readlane_b32 s1, v18, 11
	s_add_nc_u64 s[14:15], s[14:15], s[52:53]
	s_mul_u64 s[52:53], s[28:29], s[92:93]
	s_mov_b64 s[38:39], s[30:31]
	s_add_nc_u64 s[18:19], s[18:19], s[52:53]
	s_mul_u64 s[52:53], s[34:35], s[10:11]
	s_mov_b32 s101, s1
	s_add_nc_u64 s[6:7], s[6:7], s[52:53]
	s_mul_u64 s[52:53], s[58:59], s[96:97]
	s_mul_u64 s[0:1], s[100:101], s[80:81]
	s_add_nc_u64 s[62:63], s[4:5], s[52:53]
	v_readlane_b32 s4, v17, 24
	v_readlane_b32 s5, v17, 25
	s_mov_b32 s5, s9
	v_readlane_b32 s8, v16, 14
	v_readlane_b32 s9, v16, 15
	s_and_b32 s4, s4, 0x3ffffff
	s_delay_alu instid0(SALU_CYCLE_1)
	s_add_nc_u64 s[4:5], s[56:57], s[4:5]
	s_mul_u64 s[56:57], s[34:35], s[78:79]
	s_mul_u64 s[24:25], s[4:5], s[70:71]
	s_add_nc_u64 s[2:3], s[2:3], s[56:57]
	s_mul_u64 s[56:57], s[34:35], s[74:75]
	s_mul_u64 s[90:91], s[4:5], s[38:39]
	s_add_nc_u64 s[22:23], s[22:23], s[56:57]
	s_mul_u64 s[56:57], s[28:29], s[20:21]
	s_add_nc_u64 s[0:1], s[22:23], s[0:1]
	s_add_nc_u64 s[58:59], s[46:47], s[56:57]
	s_mul_u64 s[46:47], s[34:35], s[94:95]
	s_mul_u64 s[22:23], s[100:101], vcc
	s_add_nc_u64 s[16:17], s[16:17], s[46:47]
	s_mul_u64 s[46:47], s[34:35], s[92:93]
	s_mul_u64 s[56:57], s[4:5], s[44:45]
	s_add_nc_u64 s[46:47], s[14:15], s[46:47]
	s_mul_u64 s[14:15], s[28:29], s[96:97]
	s_delay_alu instid0(SALU_CYCLE_1) | instskip(SKIP_3) | instid1(SALU_CYCLE_1)
	s_add_nc_u64 s[52:53], s[6:7], s[14:15]
	v_readlane_b32 s6, v18, 10
	v_readlane_b32 s7, v18, 11
	s_mul_u64 s[6:7], s[6:7], s[80:81]
	s_add_nc_u64 s[2:3], s[2:3], s[6:7]
	v_readlane_b32 s6, v18, 10
	v_readlane_b32 s7, v18, 11
	s_mul_u64 s[6:7], s[6:7], s[70:71]
	s_delay_alu instid0(SALU_CYCLE_1)
	s_add_nc_u64 s[72:73], s[6:7], s[22:23]
	s_mul_u64 s[6:7], s[100:101], s[84:85]
	s_mul_u64 s[22:23], s[100:101], s[10:11]
	s_add_nc_u64 s[6:7], s[8:9], s[6:7]
	v_readlane_b32 s8, v18, 10
	v_readlane_b32 s9, v18, 11
	s_add_nc_u64 s[22:23], s[46:47], s[22:23]
	s_mul_u64 s[46:47], s[100:101], s[30:31]
	s_mul_u64 s[28:29], s[8:9], s[26:27]
	s_delay_alu instid0(SALU_CYCLE_1)
	s_add_nc_u64 s[66:67], s[28:29], s[46:47]
	s_mul_u64 s[46:47], s[4:5], s[74:75]
	s_mul_u64 s[28:29], s[100:101], s[42:43]
	s_add_nc_u64 s[12:13], s[2:3], s[46:47]
	s_mul_u64 s[46:47], s[4:5], s[20:21]
	s_add_nc_u64 s[28:29], s[50:51], s[28:29]
	s_add_nc_u64 s[14:15], s[0:1], s[46:47]
	s_mul_u64 s[46:47], s[4:5], s[80:81]
	s_mul_u64 s[50:51], s[4:5], vcc
	s_add_nc_u64 s[40:41], s[40:41], s[46:47]
	s_mul_u64 s[46:47], s[100:101], s[70:71]
	v_readlane_b32 s0, v17, 28
	v_readlane_b32 s1, v17, 29
	s_add_nc_u64 s[46:47], s[46:47], s[50:51]
	s_mul_u64 s[50:51], s[34:35], vcc
	s_mul_u64 s[70:71], s[4:5], s[76:77]
	s_add_nc_u64 s[24:25], s[24:25], s[50:51]
	s_mul_u64 s[50:51], s[4:5], s[36:37]
	s_add_nc_u64 s[8:9], s[6:7], s[70:71]
	s_add_nc_u64 s[50:51], s[0:1], s[50:51]
	v_readlane_b32 s0, v16, 0
	v_readlane_b32 s1, v16, 1
	s_mul_u64 s[70:71], s[4:5], s[84:85]
	v_readlane_b32 s2, v17, 20
	v_readlane_b32 s3, v17, 21
	;; [unrolled: 1-line block ×3, first 2 shown]
	s_add_nc_u64 s[56:57], s[0:1], s[56:57]
	v_readlane_b32 s0, v16, 2
	v_readlane_b32 s1, v16, 3
	;; [unrolled: 1-line block ×3, first 2 shown]
	s_add_nc_u64 s[30:31], s[0:1], s[70:71]
	s_mul_u64 s[70:71], s[4:5], s[78:79]
	v_readlane_b32 s0, v17, 26
	s_add_nc_u64 s[54:55], s[54:55], s[70:71]
	s_mul_u64 s[70:71], s[4:5], s[92:93]
	v_readlane_b32 s1, v17, 27
	s_add_nc_u64 s[16:17], s[16:17], s[70:71]
	s_mul_u64 s[70:71], s[4:5], s[96:97]
	s_delay_alu instid0(SALU_CYCLE_1) | instskip(SKIP_1) | instid1(SALU_CYCLE_1)
	s_add_nc_u64 s[70:71], s[22:23], s[70:71]
	s_mul_u64 s[22:23], s[4:5], s[10:11]
	s_add_nc_u64 s[18:19], s[18:19], s[22:23]
	s_mul_u64 s[22:23], s[100:101], s[26:27]
	s_delay_alu instid0(SALU_CYCLE_1) | instskip(SKIP_2) | instid1(SALU_CYCLE_1)
	s_add_nc_u64 s[90:91], s[22:23], s[90:91]
	s_mul_u64 s[22:23], s[4:5], s[26:27]
	s_mul_u64 s[26:27], s[34:35], s[38:39]
	s_add_nc_u64 s[26:27], s[22:23], s[26:27]
	s_mul_u64 s[22:23], s[4:5], s[102:103]
	s_delay_alu instid0(SALU_CYCLE_1) | instskip(SKIP_1) | instid1(SALU_CYCLE_1)
	s_add_nc_u64 s[0:1], s[0:1], s[22:23]
	s_mul_u64 s[22:23], s[4:5], s[68:69]
	s_add_nc_u64 s[2:3], s[2:3], s[22:23]
	s_mul_u64 s[22:23], s[4:5], s[86:87]
	s_delay_alu instid0(SALU_CYCLE_1)
	s_add_nc_u64 s[28:29], s[28:29], s[22:23]
	s_mul_u64 s[22:23], s[4:5], s[42:43]
	s_mul_u64 s[4:5], s[4:5], s[94:95]
	s_add_nc_u64 s[6:7], s[6:7], s[22:23]
	s_add_nc_u64 s[48:49], s[48:49], s[4:5]
	s_mul_u64 s[4:5], s[100:101], s[20:21]
	s_delay_alu instid0(SALU_CYCLE_1) | instskip(SKIP_1) | instid1(SALU_CYCLE_1)
	s_add_nc_u64 s[22:23], s[12:13], s[4:5]
	s_mul_u64 s[4:5], s[34:35], s[20:21]
	s_add_nc_u64 s[12:13], s[40:41], s[4:5]
	v_readlane_b32 s4, v18, 10
	v_readlane_b32 s5, v18, 11
	s_mul_u64 s[4:5], s[4:5], s[36:37]
	s_delay_alu instid0(SALU_CYCLE_1) | instskip(SKIP_1) | instid1(SALU_CYCLE_1)
	s_add_nc_u64 s[40:41], s[46:47], s[4:5]
	s_mul_u64 s[4:5], s[100:101], s[36:37]
	s_add_nc_u64 s[24:25], s[24:25], s[4:5]
	s_mul_u64 s[4:5], s[100:101], s[44:45]
	s_delay_alu instid0(SALU_CYCLE_1)
	s_add_nc_u64 s[36:37], s[50:51], s[4:5]
	v_readlane_b32 s4, v18, 10
	v_readlane_b32 s5, v18, 11
	;; [unrolled: 1-line block ×4, first 2 shown]
	s_mul_u64 s[4:5], s[4:5], s[84:85]
	s_delay_alu instid0(SALU_CYCLE_1) | instskip(SKIP_3) | instid1(SALU_CYCLE_1)
	s_add_nc_u64 s[46:47], s[56:57], s[4:5]
	v_readlane_b32 s4, v18, 10
	v_readlane_b32 s5, v18, 11
	s_mul_u64 s[50:51], s[50:51], s[10:11]
	s_add_nc_u64 s[16:17], s[16:17], s[50:51]
	s_mul_u64 s[50:51], s[34:35], s[96:97]
	s_mul_u64 s[4:5], s[4:5], s[78:79]
	s_delay_alu instid0(SALU_CYCLE_1) | instskip(SKIP_1) | instid1(SALU_CYCLE_1)
	s_add_nc_u64 s[8:9], s[8:9], s[4:5]
	s_mul_u64 s[4:5], s[34:35], s[76:77]
	s_add_nc_u64 s[56:57], s[30:31], s[4:5]
	s_mul_u64 s[4:5], s[100:101], s[74:75]
	s_mul_u64 s[30:31], s[82:83], s[80:81]
	s_add_nc_u64 s[54:55], s[54:55], s[4:5]
	s_mul_u64 s[4:5], s[82:83], s[10:11]
	s_add_nc_u64 s[82:83], s[18:19], s[50:51]
	v_readlane_b32 s18, v18, 10
	v_readlane_b32 s19, v18, 11
	;; [unrolled: 1-line block ×6, first 2 shown]
	s_mul_u64 s[18:19], s[18:19], s[102:103]
	s_delay_alu instid0(SALU_CYCLE_1)
	s_add_nc_u64 s[90:91], s[90:91], s[18:19]
	s_mul_u64 s[18:19], s[100:101], s[102:103]
	s_mul_u64 s[10:11], s[10:11], s[68:69]
	s_add_nc_u64 s[18:19], s[26:27], s[18:19]
	s_mul_u64 s[26:27], s[100:101], s[68:69]
	v_readlane_b32 s102, v19, 4
	s_add_nc_u64 s[0:1], s[0:1], s[26:27]
	v_readlane_b32 s26, v18, 10
	v_readlane_b32 s27, v18, 11
	;; [unrolled: 1-line block ×3, first 2 shown]
	s_mul_u64 s[26:27], s[26:27], s[42:43]
	s_delay_alu instid0(SALU_CYCLE_1) | instskip(SKIP_3) | instid1(SALU_CYCLE_1)
	s_add_nc_u64 s[26:27], s[2:3], s[26:27]
	v_readlane_b32 s2, v18, 10
	v_readlane_b32 s3, v18, 11
	s_mul_u64 s[2:3], s[2:3], s[94:95]
	s_add_nc_u64 s[50:51], s[28:29], s[2:3]
	s_mul_u64 s[2:3], s[34:35], s[86:87]
	s_delay_alu instid0(SALU_CYCLE_1)
	s_add_nc_u64 s[28:29], s[6:7], s[2:3]
	s_mul_u64 s[2:3], s[100:101], s[92:93]
	s_mul_u64 s[6:7], s[100:101], s[96:97]
	s_add_nc_u64 s[34:35], s[48:49], s[2:3]
	v_readlane_b32 s2, v18, 10
	v_readlane_b32 s3, v18, 11
	s_add_nc_u64 s[48:49], s[18:19], s[10:11]
	v_readlane_b32 s18, v18, 10
	v_readlane_b32 s19, v18, 11
	s_add_nc_u64 s[6:7], s[16:17], s[6:7]
	s_mul_u64 s[2:3], s[2:3], s[44:45]
	s_mul_u64 s[16:17], s[100:101], s[94:95]
	s_add_nc_u64 s[44:45], s[24:25], s[2:3]
	v_readlane_b32 s2, v18, 10
	v_readlane_b32 s3, v18, 11
	s_mul_u64 s[18:19], s[18:19], s[86:87]
	s_mul_u64 s[10:11], s[100:101], s[86:87]
	v_readlane_b32 s86, v18, 10
	s_add_nc_u64 s[10:11], s[26:27], s[10:11]
	s_mul_u64 s[2:3], s[2:3], s[76:77]
	v_readlane_b32 s87, v18, 11
	s_add_nc_u64 s[36:37], s[36:37], s[2:3]
	s_mul_u64 s[2:3], s[100:101], s[76:77]
	s_delay_alu instid0(SALU_CYCLE_1)
	s_add_nc_u64 s[24:25], s[46:47], s[2:3]
	s_mul_u64 s[2:3], s[100:101], s[78:79]
	v_readlane_b32 s78, v18, 16
	s_add_nc_u64 s[46:47], s[56:57], s[2:3]
	v_readlane_b32 s2, v18, 10
	v_readlane_b32 s3, v18, 11
	;; [unrolled: 1-line block ×5, first 2 shown]
	s_mul_u64 s[2:3], s[2:3], s[20:21]
	s_delay_alu instid0(SALU_CYCLE_1)
	s_add_nc_u64 s[2:3], s[54:55], s[2:3]
	s_add_nc_u64 s[54:55], s[0:1], s[18:19]
	;; [unrolled: 1-line block ×3, first 2 shown]
	v_readlane_b32 s16, v18, 10
	v_readlane_b32 s17, v18, 11
	s_mul_u64 s[16:17], s[16:17], s[96:97]
	v_readlane_b32 s96, v19, 20
	s_add_nc_u64 s[18:19], s[34:35], s[16:17]
	s_lshr_b64 s[16:17], s[22:23], 26
	v_readlane_b32 s97, v19, 21
	s_add_nc_u64 s[14:15], s[14:15], s[16:17]
	v_readlane_b32 s16, v18, 10
	v_readlane_b32 s17, v18, 11
	s_mul_u64 s[16:17], s[16:17], s[74:75]
	s_delay_alu instid0(SALU_CYCLE_1)
	s_add_nc_u64 s[42:43], s[46:47], s[16:17]
	v_readlane_b32 s16, v18, 10
	v_readlane_b32 s17, v18, 11
	s_mul_u64 s[16:17], s[16:17], s[92:93]
	v_readlane_b32 s92, v19, 16
	s_add_nc_u64 s[20:21], s[0:1], s[16:17]
	s_lshr_b64 s[16:17], s[14:15], 26
	s_lshr_b64 s[0:1], s[6:7], 26
	s_add_nc_u64 s[16:17], s[12:13], s[16:17]
	s_and_b32 s12, s14, 0x3ffffff
	v_readlane_b32 s14, v18, 10
	v_readlane_b32 s15, v18, 11
	s_add_nc_u64 s[0:1], s[70:71], s[0:1]
	v_readlane_b32 s93, v19, 17
	s_and_b32 s6, s6, 0x3ffffff
	s_mov_b32 s13, s15
	v_readlane_b32 s14, v18, 10
	v_readlane_b32 s15, v18, 11
	s_mul_u64 s[26:27], s[12:13], 0x3d10
	s_lshl_b64 s[12:13], s[12:13], 10
	s_mul_u64 s[14:15], s[14:15], vcc
	v_readlane_b32 vcc_lo, v19, 6
	s_add_nc_u64 s[26:27], s[26:27], s[14:15]
	s_add_nc_u64 s[14:15], s[72:73], s[12:13]
	s_lshr_b64 s[12:13], s[0:1], 26
	s_and_b32 s0, s0, 0x3ffffff
	s_add_nc_u64 s[28:29], s[82:83], s[12:13]
	s_lshr_b64 s[12:13], s[16:17], 26
	s_and_b32 s16, s16, 0x3ffffff
	s_add_nc_u64 s[34:35], s[58:59], s[12:13]
	v_readlane_b32 s12, v18, 10
	v_readlane_b32 s13, v18, 11
	v_readlane_b32 vcc_hi, v19, 7
	s_mov_b32 s1, s13
	v_readlane_b32 s12, v18, 10
	v_readlane_b32 s13, v18, 11
	s_mul_u64 s[46:47], s[0:1], 0x3d10
	s_lshl_b64 s[0:1], s[0:1], 10
	s_delay_alu instid0(SALU_CYCLE_1)
	s_add_nc_u64 s[0:1], s[66:67], s[0:1]
	s_mul_u64 s[12:13], s[12:13], s[38:39]
	v_readlane_b32 s38, v18, 10
	s_add_nc_u64 s[12:13], s[46:47], s[12:13]
	s_lshr_b64 s[46:47], s[26:27], 26
	v_readlane_b32 s39, v18, 11
	s_add_nc_u64 s[14:15], s[14:15], s[46:47]
	v_readlane_b32 s46, v18, 10
	v_readlane_b32 s47, v18, 11
	s_and_b32 s26, s26, 0x3ffffff
	s_mov_b32 s17, s47
	s_delay_alu instid0(SALU_CYCLE_1)
	s_lshl_b64 s[46:47], s[16:17], 10
	s_mul_u64 s[16:17], s[16:17], 0x3d10
	s_add_nc_u64 s[40:41], s[40:41], s[46:47]
	s_add_nc_u64 s[68:69], s[14:15], s[16:17]
	s_lshr_b64 s[16:17], s[12:13], 26
	s_lshr_b64 s[46:47], s[28:29], 26
	s_add_nc_u64 s[0:1], s[0:1], s[16:17]
	s_and_b32 s16, s28, 0x3ffffff
	v_readlane_b32 s28, v18, 10
	v_readlane_b32 s29, v18, 11
	s_lshr_b64 s[14:15], s[34:35], 26
	s_and_b32 s34, s34, 0x3ffffff
	s_mov_b32 s35, s39
	s_add_nc_u64 s[46:47], s[52:53], s[46:47]
	s_mov_b32 s17, s29
	s_mul_u64 s[38:39], s[34:35], 0x3d10
	s_lshl_b64 s[28:29], s[16:17], 10
	s_mul_u64 s[16:17], s[16:17], 0x3d10
	s_add_nc_u64 s[40:41], s[40:41], s[38:39]
	s_lshl_b64 s[34:35], s[34:35], 10
	s_add_nc_u64 s[38:39], s[0:1], s[16:17]
	s_lshr_b64 s[0:1], s[46:47], 26
	s_add_nc_u64 s[14:15], s[60:61], s[14:15]
	s_add_nc_u64 s[34:35], s[44:45], s[34:35]
	s_add_nc_u64 s[44:45], s[62:63], s[0:1]
	s_lshr_b64 s[0:1], s[68:69], 26
	s_add_nc_u64 s[28:29], s[90:91], s[28:29]
	s_add_nc_u64 s[16:17], s[40:41], s[0:1]
	s_lshr_b64 s[0:1], s[14:15], 26
	s_and_b32 s12, s12, 0x3ffffff
	s_add_nc_u64 s[40:41], s[98:99], s[0:1]
	s_and_b32 s0, s46, 0x3ffffff
	v_readlane_b32 s46, v18, 10
	v_readlane_b32 s47, v18, 11
	;; [unrolled: 1-line block ×4, first 2 shown]
	s_mov_b32 s1, s47
	s_delay_alu instid0(SALU_CYCLE_1)
	s_mul_u64 s[46:47], s[0:1], 0x3d10
	s_lshl_b64 s[0:1], s[0:1], 10
	s_add_nc_u64 s[28:29], s[28:29], s[46:47]
	s_add_nc_u64 s[46:47], s[48:49], s[0:1]
	s_and_b32 s0, s14, 0x3ffffff
	v_readlane_b32 s14, v18, 10
	v_readlane_b32 s15, v18, 11
	;; [unrolled: 1-line block ×4, first 2 shown]
	s_mov_b32 s1, s15
	s_delay_alu instid0(SALU_CYCLE_1) | instskip(SKIP_4) | instid1(SALU_CYCLE_1)
	s_mul_u64 s[14:15], s[0:1], 0x3d10
	s_lshl_b64 s[0:1], s[0:1], 10
	s_add_nc_u64 s[34:35], s[34:35], s[14:15]
	s_add_nc_u64 s[36:37], s[36:37], s[0:1]
	s_lshr_b64 s[0:1], s[38:39], 26
	s_add_nc_u64 s[14:15], s[28:29], s[0:1]
	s_lshr_b64 s[0:1], s[44:45], 26
	s_and_b32 s44, s44, 0x3ffffff
	s_mov_b32 s45, s49
	s_add_nc_u64 s[28:29], s[64:65], s[0:1]
	s_mul_u64 s[48:49], s[44:45], 0x3d10
	s_lshr_b64 s[0:1], s[16:17], 26
	s_add_nc_u64 s[46:47], s[46:47], s[48:49]
	v_readlane_b32 s48, v18, 10
	v_readlane_b32 s49, v18, 11
	v_writelane_b32 v17, s14, 24
	s_add_nc_u64 s[0:1], s[34:35], s[0:1]
	s_lshr_b64 s[34:35], s[40:41], 26
	s_and_b32 s40, s40, 0x3ffffff
	s_mov_b32 s41, s49
	v_writelane_b32 v17, s15, 25
	s_mul_u64 s[48:49], s[40:41], 0x3d10
	s_lshl_b64 s[40:41], s[40:41], 10
	s_add_nc_u64 s[36:37], s[36:37], s[48:49]
	s_add_nc_u64 s[40:41], s[24:25], s[40:41]
	s_lshr_b64 s[24:25], s[14:15], 26
	v_readlane_b32 s14, v16, 4
	v_readlane_b32 s15, v16, 5
	s_add_nc_u64 s[46:47], s[46:47], s[24:25]
	s_lshr_b64 s[24:25], s[28:29], 26
	s_add_nc_u64 s[34:35], s[88:89], s[34:35]
	s_and_b32 s28, s28, 0x3ffffff
	s_add_nc_u64 s[48:49], s[14:15], s[24:25]
	v_readlane_b32 s14, v16, 6
	v_readlane_b32 s15, v16, 7
	s_lshr_b64 s[24:25], s[0:1], 26
	s_lshl_b64 s[44:45], s[44:45], 10
	s_add_nc_u64 s[24:25], s[36:37], s[24:25]
	s_lshr_b64 s[36:37], s[34:35], 26
	s_add_nc_u64 s[44:45], s[54:55], s[44:45]
	s_add_nc_u64 s[52:53], s[14:15], s[36:37]
	v_readlane_b32 s36, v18, 10
	v_readlane_b32 s37, v18, 11
	;; [unrolled: 1-line block ×4, first 2 shown]
	s_and_b32 s1, s24, 0x3ffffff
	s_and_b32 s0, s0, 0x3ffffff
	s_mov_b32 s29, s37
	s_delay_alu instid0(SALU_CYCLE_1)
	s_mul_u64 s[36:37], s[28:29], 0x3d10
	s_lshl_b64 s[28:29], s[28:29], 10
	s_add_nc_u64 s[36:37], s[44:45], s[36:37]
	s_add_nc_u64 s[28:29], s[10:11], s[28:29]
	s_and_b32 s10, s34, 0x3ffffff
	v_readlane_b32 s34, v18, 10
	v_readlane_b32 s35, v18, 11
	;; [unrolled: 1-line block ×4, first 2 shown]
	s_mov_b32 s11, s35
	s_delay_alu instid0(SALU_CYCLE_1) | instskip(SKIP_4) | instid1(SALU_CYCLE_1)
	s_mul_u64 s[34:35], s[10:11], 0x3d10
	s_lshl_b64 s[10:11], s[10:11], 10
	s_add_nc_u64 s[34:35], s[40:41], s[34:35]
	s_add_nc_u64 s[8:9], s[8:9], s[10:11]
	s_lshr_b64 s[10:11], s[46:47], 26
	s_add_nc_u64 s[40:41], s[36:37], s[10:11]
	s_lshr_b64 s[10:11], s[48:49], 26
	s_and_b32 s56, s40, 0x3ffffff
	s_add_nc_u64 s[54:55], s[14:15], s[10:11]
	s_lshr_b64 s[10:11], s[24:25], 26
	v_readlane_b32 s14, v17, 30
	s_add_nc_u64 s[36:37], s[34:35], s[10:11]
	s_and_b32 s34, s48, 0x3ffffff
	s_mov_b32 s35, s45
	v_readlane_b32 s15, v17, 31
	s_mul_u64 s[44:45], s[34:35], 0x3d10
	s_lshl_b64 s[34:35], s[34:35], 10
	s_add_nc_u64 s[28:29], s[28:29], s[44:45]
	v_readlane_b32 s44, v18, 10
	v_readlane_b32 s45, v18, 11
	s_lshr_b64 s[10:11], s[52:53], 26
	s_add_nc_u64 s[48:49], s[50:51], s[34:35]
	s_and_b32 s34, s52, 0x3ffffff
	s_add_nc_u64 s[10:11], s[14:15], s[10:11]
	s_mov_b32 s35, s45
	v_readlane_b32 s14, v18, 30
	s_mul_u64 s[44:45], s[34:35], 0x3d10
	s_lshl_b64 s[34:35], s[34:35], 10
	v_readlane_b32 s15, v18, 31
	s_add_nc_u64 s[34:35], s[42:43], s[34:35]
	s_lshr_b64 s[42:43], s[40:41], 26
	s_add_nc_u64 s[8:9], s[8:9], s[44:45]
	s_add_nc_u64 s[28:29], s[28:29], s[42:43]
	s_lshr_b64 s[42:43], s[54:55], 26
	s_delay_alu instid0(SALU_CYCLE_1)
	s_add_nc_u64 s[58:59], s[14:15], s[42:43]
	s_lshr_b64 s[42:43], s[36:37], 26
	v_readlane_b32 s14, v19, 14
	s_add_nc_u64 s[8:9], s[8:9], s[42:43]
	s_lshr_b64 s[42:43], s[10:11], 26
	v_readlane_b32 s15, v19, 15
	s_add_nc_u64 s[44:45], s[42:43], s[30:31]
	v_readlane_b32 s42, v18, 10
	v_readlane_b32 s43, v18, 11
	s_and_b32 s30, s54, 0x3ffffff
	s_and_b32 s10, s10, 0x3ffffff
	;; [unrolled: 1-line block ×3, first 2 shown]
	s_mov_b32 s31, s43
	s_delay_alu instid0(SALU_CYCLE_1)
	s_mul_u64 s[42:43], s[30:31], 0x3d10
	s_lshl_b64 s[30:31], s[30:31], 10
	s_add_nc_u64 s[62:63], s[48:49], s[42:43]
	s_add_nc_u64 s[60:61], s[20:21], s[30:31]
	v_readlane_b32 s20, v18, 10
	v_readlane_b32 s21, v18, 11
	s_and_b32 s42, s46, 0x3ffffff
	v_readlane_b32 s46, v19, 18
	v_readlane_b32 s47, v19, 19
	s_mov_b32 s43, s21
	v_readlane_b32 s20, v18, 10
	v_readlane_b32 s21, v18, 11
	s_mov_b64 s[94:95], s[46:47]
	s_mov_b32 s57, s21
	s_mul_u64 s[20:21], s[42:43], s[46:47]
	s_mul_u64 s[30:31], s[56:57], s[98:99]
	;; [unrolled: 1-line block ×3, first 2 shown]
	s_add_nc_u64 s[20:21], s[30:31], s[20:21]
	s_mul_u64 s[30:31], s[42:43], vcc
	s_mul_u64 s[46:47], s[56:57], s[102:103]
	s_add_nc_u64 s[66:67], s[40:41], s[30:31]
	s_mul_u64 s[30:31], s[42:43], s[14:15]
	s_mul_u64 s[40:41], s[56:57], vcc
	s_mul_u64 s[48:49], s[56:57], s[100:101]
	s_add_nc_u64 s[64:65], s[40:41], s[30:31]
	s_mul_u64 s[30:31], s[42:43], s[78:79]
	s_mul_u64 s[40:41], s[56:57], s[14:15]
	;; [unrolled: 1-line block ×3, first 2 shown]
	s_add_nc_u64 s[76:77], s[40:41], s[30:31]
	s_mul_u64 s[30:31], s[42:43], s[102:103]
	s_mul_u64 s[40:41], s[56:57], s[80:81]
	s_delay_alu instid0(SALU_CYCLE_1) | instskip(SKIP_1) | instid1(SALU_CYCLE_1)
	s_add_nc_u64 s[30:31], s[40:41], s[30:31]
	s_mul_u64 s[40:41], s[42:43], s[92:93]
	s_add_nc_u64 s[54:55], s[46:47], s[40:41]
	s_mul_u64 s[40:41], s[42:43], s[100:101]
	s_mul_u64 s[46:47], s[56:57], s[92:93]
	s_delay_alu instid0(SALU_CYCLE_1) | instskip(SKIP_1) | instid1(SALU_CYCLE_1)
	s_add_nc_u64 s[40:41], s[46:47], s[40:41]
	s_mul_u64 s[46:47], s[42:43], s[96:97]
	s_add_nc_u64 s[46:47], s[48:49], s[46:47]
	s_mul_u64 s[48:49], s[42:43], s[98:99]
	s_delay_alu instid0(SALU_CYCLE_1) | instskip(SKIP_3) | instid1(SALU_CYCLE_1)
	s_add_nc_u64 s[72:73], s[50:51], s[48:49]
	v_readlane_b32 s48, v18, 10
	v_readlane_b32 s49, v18, 11
	s_mov_b32 s11, s49
	s_mul_u64 s[48:49], s[10:11], 0x3d10
	s_lshl_b64 s[10:11], s[10:11], 10
	s_add_nc_u64 s[34:35], s[34:35], s[48:49]
	s_add_nc_u64 s[2:3], s[2:3], s[10:11]
	s_lshr_b64 s[10:11], s[28:29], 26
	s_and_b32 s28, s28, 0x3ffffff
	s_add_nc_u64 s[48:49], s[62:63], s[10:11]
	s_lshr_b64 s[10:11], s[58:59], 26
	s_mov_b64 s[62:63], s[80:81]
	s_add_nc_u64 s[50:51], s[10:11], s[4:5]
	s_lshr_b64 s[4:5], s[8:9], 26
	s_delay_alu instid0(SALU_CYCLE_1) | instskip(SKIP_4) | instid1(SALU_CYCLE_1)
	s_add_nc_u64 s[10:11], s[34:35], s[4:5]
	v_readlane_b32 s34, v18, 10
	v_readlane_b32 s35, v18, 11
	s_and_b32 s4, s58, 0x3ffffff
	s_mov_b32 s5, s35
	s_mul_u64 s[34:35], s[4:5], 0x3d10
	s_lshl_b64 s[4:5], s[4:5], 10
	s_add_nc_u64 s[34:35], s[60:61], s[34:35]
	s_add_nc_u64 s[58:59], s[18:19], s[4:5]
	v_readlane_b32 s4, v18, 10
	v_readlane_b32 s5, v18, 11
	s_mov_b64 s[60:61], s[78:79]
	s_delay_alu instid0(SALU_CYCLE_1) | instskip(SKIP_1) | instid1(SALU_CYCLE_1)
	s_mov_b64 s[24:25], s[60:61]
	s_mov_b32 s29, s5
	s_mul_u64 s[4:5], s[28:29], s[96:97]
	s_mul_u64 s[18:19], s[28:29], s[14:15]
	s_add_nc_u64 s[70:71], s[20:21], s[4:5]
	s_mul_u64 s[4:5], s[28:29], s[98:99]
	s_delay_alu instid0(SALU_CYCLE_1) | instskip(SKIP_1) | instid1(SALU_CYCLE_1)
	s_add_nc_u64 s[52:53], s[66:67], s[4:5]
	s_mul_u64 s[4:5], s[28:29], s[94:95]
	s_add_nc_u64 s[74:75], s[64:65], s[4:5]
	s_mul_u64 s[4:5], s[28:29], vcc
	s_delay_alu instid0(SALU_CYCLE_1) | instskip(SKIP_1) | instid1(SALU_CYCLE_1)
	s_add_nc_u64 s[76:77], s[76:77], s[4:5]
	s_mul_u64 s[4:5], s[56:57], s[78:79]
	s_add_nc_u64 s[20:21], s[18:19], s[4:5]
	s_mul_u64 s[4:5], s[28:29], s[80:81]
	s_delay_alu instid0(SALU_CYCLE_1) | instskip(SKIP_1) | instid1(SALU_CYCLE_1)
	s_add_nc_u64 s[56:57], s[54:55], s[4:5]
	s_mul_u64 s[4:5], s[28:29], s[102:103]
	s_add_nc_u64 s[78:79], s[40:41], s[4:5]
	s_mul_u64 s[4:5], s[28:29], s[92:93]
	s_delay_alu instid0(SALU_CYCLE_1) | instskip(SKIP_4) | instid1(SALU_CYCLE_1)
	s_add_nc_u64 s[80:81], s[46:47], s[4:5]
	s_mul_u64 s[4:5], s[28:29], s[100:101]
	s_mul_u64 s[28:29], s[28:29], s[60:61]
	s_add_nc_u64 s[82:83], s[72:73], s[4:5]
	s_mul_u64 s[4:5], s[86:87], 0x3d10
	s_add_nc_u64 s[88:89], s[2:3], s[4:5]
	v_readlane_b32 s4, v18, 10
	v_readlane_b32 s5, v18, 11
	s_and_b32 s2, s22, 0x3ffffff
	s_lshr_b64 s[22:23], s[44:45], 26
	v_readlane_b32 s44, v18, 10
	v_readlane_b32 s45, v18, 11
	s_mov_b32 s3, s5
	s_mul_u64 s[4:5], s[22:23], 0x3d10
	s_delay_alu instid0(SALU_CYCLE_1)
	s_add_nc_u64 s[90:91], s[4:5], s[2:3]
	s_and_b32 s4, s104, 0x3ffffff
	s_lshr_b64 s[2:3], s[48:49], 26
	v_writelane_b32 v17, s4, 30
	s_add_nc_u64 s[66:67], s[34:35], s[2:3]
	s_and_b32 s2, s36, 0x3ffffff
	s_lshr_b64 s[64:65], s[66:67], 26
	s_sub_co_i32 s2, s2, s4
	v_writelane_b32 v17, s5, 31
	s_add_co_i32 s4, s2, 0xffffffc
	v_readlane_b32 s2, v18, 10
	v_readlane_b32 s2, v18, 28
	;; [unrolled: 1-line block ×3, first 2 shown]
	s_and_b32 s2, s2, 0x3ffffff
	s_mov_b32 s5, s3
	v_writelane_b32 v16, s2, 8
	s_sub_co_i32 s1, s1, s2
	s_delay_alu instid0(SALU_CYCLE_1)
	s_add_co_i32 s18, s1, 0xffffffc
	v_readlane_b32 s1, v17, 2
	v_writelane_b32 v16, s3, 9
	v_readlane_b32 s2, v18, 10
	v_readlane_b32 s3, v18, 11
	s_and_b32 s2, s1, 0x3ffffff
	s_mov_b32 s19, s3
	v_writelane_b32 v16, s2, 14
	s_mov_b64 s[84:85], s[18:19]
	s_sub_co_i32 s0, s0, s2
	v_writelane_b32 v18, s84, 28
	s_add_co_i32 s34, s0, 0xffffffc
	v_writelane_b32 v16, s3, 15
	s_lshl_b32 s44, s34, 1
	s_mul_u64 s[0:1], s[84:85], s[84:85]
	v_writelane_b32 v18, s85, 29
	s_mul_u64 s[18:19], s[4:5], s[44:45]
	s_delay_alu instid0(SALU_CYCLE_1) | instskip(NEXT) | instid1(VALU_DEP_1)
	s_add_nc_u64 s[0:1], s[18:19], s[0:1]
	v_readlane_b32 s2, v18, 10
	s_and_b32 s2, s50, 0x3ffffff
	v_readlane_b32 s3, v18, 11
	v_writelane_b32 v18, s2, 10
	s_lshr_b64 s[50:51], s[50:51], 26
	v_writelane_b32 v16, s0, 10
	s_mul_u64 s[40:41], s[50:51], 0x3d10
	v_writelane_b32 v18, s3, 11
	v_writelane_b32 v16, s1, 11
	s_lshr_b64 s[0:1], s[10:11], 26
	s_delay_alu instid0(VALU_DEP_2)
	v_readlane_b32 s2, v18, 10
	v_readlane_b32 s3, v18, 11
	s_add_nc_u64 s[36:37], s[88:89], s[0:1]
	s_mov_b64 s[88:89], s[62:63]
	s_lshl_b64 s[0:1], s[86:87], 10
	s_mul_u64 s[18:19], s[2:3], 0x3d10
	v_readlane_b32 s2, v18, 10
	v_readlane_b32 s3, v18, 11
	s_add_nc_u64 s[18:19], s[58:59], s[18:19]
	s_add_nc_u64 s[0:1], s[90:91], s[0:1]
	;; [unrolled: 1-line block ×3, first 2 shown]
	s_mov_b32 s7, s3
	v_readlane_b32 s2, v18, 10
	v_readlane_b32 s3, v18, 11
	s_add_nc_u64 s[6:7], s[40:41], s[6:7]
	s_and_b32 s40, s48, 0x3ffffff
	s_and_b32 s86, s64, 0x3ffffff
	s_mov_b32 s41, s3
	v_readlane_b32 s2, v18, 10
	v_readlane_b32 s3, v18, 11
	s_mul_u64 s[48:49], s[40:41], s[96:97]
	s_mul_u64 s[46:47], s[40:41], s[100:101]
	s_add_nc_u64 s[48:49], s[52:53], s[48:49]
	s_mul_u64 s[52:53], s[40:41], s[98:99]
	s_lshl_b64 s[18:19], s[2:3], 10
	s_and_b32 s2, s8, 0x3ffffff
	s_add_nc_u64 s[72:73], s[6:7], s[18:19]
	s_and_b32 s6, s33, 0x3ffffff
	s_add_nc_u64 s[54:55], s[74:75], s[52:53]
	v_writelane_b32 v16, s6, 16
	s_mul_u64 s[52:53], s[40:41], s[94:95]
	s_sub_co_i32 s2, s2, s6
	s_add_nc_u64 s[58:59], s[76:77], s[52:53]
	s_mul_u64 s[52:53], s[40:41], vcc
	v_writelane_b32 v16, s7, 17
	s_add_co_i32 s6, s2, 0xffffffc
	v_readlane_b32 s2, v18, 10
	s_add_nc_u64 s[20:21], s[20:21], s[52:53]
	s_mul_u64 s[52:53], s[40:41], s[14:15]
	v_readlane_b32 s3, v18, 11
	s_add_nc_u64 s[46:47], s[70:71], s[46:47]
	v_readlane_b32 s70, v18, 10
	s_add_nc_u64 s[28:29], s[52:53], s[28:29]
	s_mul_u64 s[52:53], s[40:41], s[62:63]
	s_mul_u64 s[62:63], s[40:41], s[92:93]
	v_readlane_b32 s71, v18, 11
	s_add_nc_u64 s[62:63], s[82:83], s[62:63]
	s_mov_b64 s[82:83], s[4:5]
	s_mov_b32 s7, s3
	s_lshl_b32 s70, s84, 1
	v_writelane_b32 v18, s82, 30
	s_mul_u64 s[8:9], s[4:5], s[70:71]
	s_mul_u64 s[74:75], s[6:7], s[44:45]
	s_and_b32 s76, s66, 0x3ffffff
	s_add_nc_u64 s[2:3], s[74:75], s[8:9]
	v_writelane_b32 v18, s83, 31
	v_writelane_b32 v16, s2, 2
	s_mul_u64 s[8:9], s[4:5], s[4:5]
	s_mul_u64 s[74:75], s[6:7], s[70:71]
	s_add_nc_u64 s[52:53], s[78:79], s[52:53]
	s_add_nc_u64 s[74:75], s[74:75], s[8:9]
	v_writelane_b32 v16, s3, 3
	v_readlane_b32 s2, v18, 10
	v_readlane_b32 s3, v18, 11
	s_lshr_b64 s[8:9], s[36:37], 26
	s_and_b32 s2, s10, 0x3ffffff
	s_add_nc_u64 s[0:1], s[0:1], s[8:9]
	s_mul_u64 s[60:61], s[40:41], s[102:103]
	s_mov_b32 s77, s3
	v_readlane_b32 s3, v17, 14
	s_mul_u64 s[8:9], s[76:77], s[92:93]
	s_add_nc_u64 s[60:61], s[80:81], s[60:61]
	s_add_nc_u64 s[46:47], s[46:47], s[8:9]
	s_mul_u64 s[8:9], s[76:77], s[100:101]
	s_and_b32 s4, s3, 0x3ffffff
	s_add_nc_u64 s[48:49], s[48:49], s[8:9]
	s_mul_u64 s[8:9], s[76:77], s[96:97]
	v_writelane_b32 v16, s4, 18
	s_add_nc_u64 s[54:55], s[54:55], s[8:9]
	s_mul_u64 s[8:9], s[76:77], s[98:99]
	s_sub_co_i32 s2, s2, s4
	s_add_nc_u64 s[58:59], s[58:59], s[8:9]
	s_mul_u64 s[8:9], s[76:77], s[94:95]
	v_writelane_b32 v16, s5, 19
	s_add_nc_u64 s[78:79], s[20:21], s[8:9]
	s_mul_u64 s[8:9], s[76:77], vcc
	s_mul_u64 s[20:21], s[76:77], s[14:15]
	s_add_nc_u64 s[80:81], s[28:29], s[8:9]
	s_mul_u64 s[8:9], s[40:41], s[24:25]
	s_add_co_i32 s4, s2, 0xffffffc
	v_readlane_b32 s2, v18, 10
	s_add_nc_u64 s[40:41], s[20:21], s[8:9]
	s_mul_u64 s[8:9], s[76:77], s[88:89]
	v_readlane_b32 s3, v18, 11
	s_add_nc_u64 s[66:67], s[60:61], s[8:9]
	s_mul_u64 s[8:9], s[76:77], s[102:103]
	s_mov_b64 s[90:91], s[6:7]
	s_add_nc_u64 s[60:61], s[62:63], s[8:9]
	s_lshr_b64 s[8:9], s[64:65], 26
	v_writelane_b32 v17, s90, 2
	s_mov_b32 s5, s3
	v_readlane_b32 s2, v18, 10
	s_add_nc_u64 s[62:63], s[72:73], s[8:9]
	v_readlane_b32 s72, v18, 10
	v_readlane_b32 s3, v18, 11
	;; [unrolled: 1-line block ×3, first 2 shown]
	v_writelane_b32 v17, s91, 3
	s_mul_u64 s[10:11], s[4:5], s[44:45]
	s_lshl_b32 s72, s82, 1
	s_mov_b32 s87, s3
	v_readlane_b32 s2, v18, 10
	s_add_nc_u64 s[20:21], s[74:75], s[10:11]
	s_mul_u64 s[10:11], s[6:7], s[72:73]
	s_mul_u64 s[74:75], s[4:5], s[70:71]
	s_and_b32 s2, s62, 0x3fffff
	v_readlane_b32 s3, v18, 11
	s_add_nc_u64 s[74:75], s[74:75], s[10:11]
	s_mul_u64 s[10:11], s[6:7], s[6:7]
	v_writelane_b32 v18, s2, 10
	v_readlane_b32 s6, v17, 12
	s_mul_u64 s[82:83], s[4:5], s[72:73]
	s_mov_b64 s[28:29], s[4:5]
	s_add_nc_u64 s[82:83], s[82:83], s[10:11]
	s_lshl_b64 s[10:11], s[22:23], 14
	s_lshr_b64 s[22:23], s[0:1], 22
	v_writelane_b32 v18, s3, 11
	s_and_b32 s2, s6, 0x3ffffff
	s_add_nc_u64 s[84:85], s[22:23], s[10:11]
	s_mul_u64 s[10:11], s[86:87], s[102:103]
	v_writelane_b32 v16, s2, 20
	s_add_nc_u64 s[46:47], s[46:47], s[10:11]
	s_mul_u64 s[10:11], s[86:87], s[92:93]
	s_and_b32 s1, s36, 0x3ffffff
	s_add_nc_u64 s[48:49], s[48:49], s[10:11]
	s_mul_u64 s[10:11], s[86:87], s[100:101]
	v_writelane_b32 v16, s3, 21
	s_add_nc_u64 s[54:55], s[54:55], s[10:11]
	s_mul_u64 s[10:11], s[86:87], s[96:97]
	s_sub_co_i32 s1, s1, s2
	v_readlane_b32 s2, v18, 10
	v_readlane_b32 s3, v18, 11
	s_add_nc_u64 s[58:59], s[58:59], s[10:11]
	s_mul_u64 s[10:11], s[86:87], s[98:99]
	s_add_co_i32 s4, s1, 0xffffffc
	s_add_nc_u64 s[64:65], s[78:79], s[10:11]
	s_mul_u64 s[10:11], s[86:87], s[94:95]
	s_mov_b32 s5, s3
	s_add_nc_u64 s[78:79], s[80:81], s[10:11]
	s_mul_u64 s[10:11], s[86:87], vcc
	s_mul_u64 s[22:23], s[86:87], s[14:15]
	s_add_nc_u64 s[40:41], s[40:41], s[10:11]
	s_mul_u64 s[10:11], s[76:77], s[24:25]
	s_mul_u64 s[36:37], s[4:5], s[44:45]
	s_add_nc_u64 s[76:77], s[22:23], s[10:11]
	s_lshr_b64 s[22:23], s[62:63], 22
	s_add_nc_u64 s[62:63], s[74:75], s[36:37]
	s_mul_u64 s[36:37], s[4:5], s[70:71]
	v_readlane_b32 s2, v18, 10
	s_add_nc_u64 s[74:75], s[82:83], s[36:37]
	v_readlane_b32 s82, v18, 10
	v_readlane_b32 s83, v18, 11
	;; [unrolled: 1-line block ×3, first 2 shown]
	s_mul_u64 s[10:11], s[86:87], s[88:89]
	s_lshl_b32 s82, s90, 1
	s_add_nc_u64 s[80:81], s[60:61], s[10:11]
	s_lshl_b64 s[10:11], s[50:51], 14
	s_mul_u64 s[36:37], s[28:29], s[82:83]
	s_mul_u64 s[50:51], s[4:5], s[72:73]
	s_mov_b32 s27, s3
	v_readlane_b32 s2, v18, 10
	v_readlane_b32 s3, v18, 11
	s_add_nc_u64 s[90:91], s[50:51], s[36:37]
	s_mul_u64 s[36:37], s[28:29], s[28:29]
	s_mul_u64 s[50:51], s[4:5], s[82:83]
	s_mov_b64 s[18:19], s[92:93]
	s_add_nc_u64 s[92:93], s[50:51], s[36:37]
	s_mul_u64 s[36:37], s[84:85], 0x3d1
	s_mov_b64 s[8:9], s[88:89]
	s_add_nc_u64 s[88:89], s[22:23], s[10:11]
	s_add_nc_u64 s[22:23], s[36:37], s[26:27]
	s_mov_b32 s27, s3
	v_readlane_b32 s2, v18, 10
	v_readlane_b32 s3, v18, 11
	s_and_b32 s26, s68, 0x3ffffff
	s_lshl_b64 s[36:37], s[84:85], 6
	v_readlane_b32 s1, v17, 22
	s_add_nc_u64 s[26:27], s[36:37], s[26:27]
	s_mul_u64 s[36:37], s[2:3], s[8:9]
	v_readlane_b32 s2, v18, 10
	v_readlane_b32 s3, v18, 11
	s_add_nc_u64 s[46:47], s[46:47], s[36:37]
	s_and_b32 s1, s1, 0x3fffff
	s_and_b32 s0, s0, 0x3fffff
	s_mov_b64 s[10:11], s[4:5]
	s_mul_u64 s[36:37], s[2:3], s[102:103]
	v_readlane_b32 s2, v18, 10
	v_readlane_b32 s3, v18, 11
	s_add_nc_u64 s[48:49], s[48:49], s[36:37]
	s_mul_u64 s[42:43], s[42:43], s[8:9]
	s_mul_u64 s[36:37], s[2:3], s[18:19]
	v_readlane_b32 s2, v18, 10
	v_readlane_b32 s3, v18, 11
	s_add_nc_u64 s[54:55], s[54:55], s[36:37]
	s_mul_u64 s[36:37], s[2:3], s[100:101]
	v_readlane_b32 s2, v18, 10
	v_readlane_b32 s3, v18, 11
	s_add_nc_u64 s[68:69], s[58:59], s[36:37]
	;; [unrolled: 4-line block ×5, first 2 shown]
	s_mul_u64 s[40:41], s[2:3], vcc
	v_readlane_b32 s2, v18, 10
	v_readlane_b32 s3, v18, 11
	s_add_nc_u64 s[60:61], s[76:77], s[40:41]
	s_mul_u64 s[40:41], s[86:87], s[24:25]
	s_mul_u64 s[58:59], s[2:3], s[14:15]
	v_readlane_b32 s2, v18, 10
	v_readlane_b32 s3, v18, 11
	s_add_nc_u64 s[58:59], s[58:59], s[40:41]
	s_mul_u64 s[40:41], s[88:89], 0x3d1
	s_mov_b32 s13, s3
	v_readlane_b32 s2, v18, 10
	v_readlane_b32 s3, v18, 11
	s_lshr_b32 s2, s6, 26
	s_add_nc_u64 s[40:41], s[40:41], s[12:13]
	s_add_co_i32 s2, s2, s1
	s_and_b32 s12, s38, 0x3ffffff
	s_mov_b32 s13, s3
	v_writelane_b32 v16, s2, 22
	s_sub_co_i32 s0, s0, s2
	s_lshl_b64 s[38:39], s[88:89], 6
	s_mov_b64 s[6:7], s[24:25]
	s_add_nc_u64 s[76:77], s[38:39], s[12:13]
	v_writelane_b32 v16, s3, 23
	s_add_co_i32 s2, s0, 0xfffffc
	v_readlane_b32 s0, v18, 10
	v_readlane_b32 s1, v18, 11
	s_mov_b32 s3, s1
	s_delay_alu instid0(SALU_CYCLE_1) | instskip(SKIP_2) | instid1(SALU_CYCLE_1)
	s_mul_u64 s[0:1], s[2:3], s[44:45]
	s_mov_b64 s[12:13], s[2:3]
	s_add_nc_u64 s[0:1], s[74:75], s[0:1]
	v_writelane_b32 v16, s0, 24
	v_writelane_b32 v16, s1, 25
	s_mul_u64 s[0:1], s[2:3], s[70:71]
	s_mul_u64 s[70:71], s[2:3], s[82:83]
	s_add_nc_u64 s[0:1], s[90:91], s[0:1]
	s_mov_b32 s82, s22
	v_writelane_b32 v16, s0, 26
	v_writelane_b32 v16, s1, 27
	s_mul_u64 s[0:1], s[2:3], s[72:73]
	s_delay_alu instid0(SALU_CYCLE_1)
	s_add_nc_u64 s[88:89], s[92:93], s[0:1]
	v_readlane_b32 s0, v18, 10
	v_readlane_b32 s1, v18, 11
	s_lshl_b32 s0, s28, 1
	s_mov_b64 s[92:93], s[28:29]
	s_mul_u64 s[72:73], s[4:5], s[0:1]
	s_mul_u64 s[0:1], s[2:3], s[0:1]
	s_add_nc_u64 s[84:85], s[70:71], s[72:73]
	s_mul_u64 s[70:71], s[4:5], s[4:5]
	v_readlane_b32 s4, v18, 10
	s_add_nc_u64 s[0:1], s[0:1], s[70:71]
	v_readlane_b32 s5, v18, 11
	v_writelane_b32 v16, s0, 28
	s_and_b32 s2, s16, 0x3ffffff
	v_writelane_b32 v16, s1, 29
	s_lshr_b64 s[0:1], s[22:23], 26
	s_delay_alu instid0(SALU_CYCLE_1)
	s_add_nc_u64 s[26:27], s[26:27], s[0:1]
	s_lshr_b64 s[0:1], s[40:41], 26
	s_lshr_b64 s[16:17], s[26:27], 26
	s_mov_b32 s17, s5
	s_add_co_i32 s2, s16, s2
	s_and_b32 s16, s40, 0x3ffffff
	v_readlane_b32 s4, v17, 24
	s_mul_u64 s[40:41], s[16:17], s[24:25]
	v_readlane_b32 s5, v17, 25
	s_add_nc_u64 s[40:41], s[46:47], s[40:41]
	s_mul_u64 s[46:47], s[16:17], s[100:101]
	s_mov_b64 s[24:25], s[8:9]
	s_add_nc_u64 s[42:43], s[46:47], s[42:43]
	s_mul_u64 s[46:47], s[16:17], s[96:97]
	s_mov_b64 s[8:9], s[14:15]
	s_add_nc_u64 s[30:31], s[30:31], s[46:47]
	s_mul_u64 s[46:47], s[16:17], s[98:99]
	s_add_nc_u64 s[0:1], s[76:77], s[0:1]
	s_add_nc_u64 s[46:47], s[56:57], s[46:47]
	s_mul_u64 s[56:57], s[16:17], s[94:95]
	s_lshr_b64 s[70:71], s[0:1], 26
	s_add_nc_u64 s[52:53], s[52:53], s[56:57]
	s_mul_u64 s[56:57], s[16:17], vcc
	s_and_b32 s0, s0, 0x3ffffff
	s_add_nc_u64 s[56:57], s[66:67], s[56:57]
	s_mul_u64 s[66:67], s[16:17], s[14:15]
	s_and_b32 s14, s4, 0x3ffffff
	v_readlane_b32 s4, v18, 10
	v_readlane_b32 s5, v18, 11
	s_add_nc_u64 s[66:67], s[80:81], s[66:67]
	s_and_b32 s3, s26, 0x3ffffff
	s_mov_b32 s15, s5
	v_readlane_b32 s4, v18, 10
	v_readlane_b32 s5, v18, 11
	s_add_nc_u64 s[14:15], s[70:71], s[14:15]
	v_readlane_b32 s4, v19, 24
	s_mov_b32 s1, s5
	s_delay_alu instid0(SALU_CYCLE_1)
	s_mul_u64 s[70:71], s[0:1], s[8:9]
	s_mul_u64 s[72:73], s[0:1], s[24:25]
	s_add_nc_u64 s[40:41], s[40:41], s[70:71]
	s_mul_u64 s[70:71], s[0:1], s[6:7]
	s_mul_u64 s[74:75], s[0:1], s[102:103]
	s_add_nc_u64 s[48:49], s[48:49], s[70:71]
	s_mul_u64 s[70:71], s[16:17], s[102:103]
	s_delay_alu instid0(SALU_CYCLE_1) | instskip(SKIP_4) | instid1(SALU_CYCLE_1)
	s_add_nc_u64 s[70:71], s[72:73], s[70:71]
	s_mul_u64 s[72:73], s[16:17], s[18:19]
	s_mul_u64 s[16:17], s[16:17], s[24:25]
	s_add_nc_u64 s[72:73], s[74:75], s[72:73]
	s_mul_u64 s[74:75], s[0:1], s[18:19]
	s_add_nc_u64 s[42:43], s[42:43], s[74:75]
	s_mul_u64 s[74:75], s[0:1], s[100:101]
	s_delay_alu instid0(SALU_CYCLE_1) | instskip(SKIP_1) | instid1(SALU_CYCLE_1)
	s_add_nc_u64 s[30:31], s[30:31], s[74:75]
	s_mul_u64 s[74:75], s[0:1], s[96:97]
	s_add_nc_u64 s[46:47], s[46:47], s[74:75]
	s_mul_u64 s[74:75], s[0:1], s[98:99]
	s_delay_alu instid0(SALU_CYCLE_1)
	s_add_nc_u64 s[52:53], s[52:53], s[74:75]
	s_mul_u64 s[74:75], s[0:1], s[94:95]
	s_mul_u64 s[0:1], s[0:1], vcc
	s_add_nc_u64 s[56:57], s[56:57], s[74:75]
	s_add_nc_u64 s[66:67], s[66:67], s[0:1]
	s_mul_u64 s[0:1], s[14:15], vcc
	s_and_b32 vcc_lo, s4, 0x3ffffff
	s_add_nc_u64 s[0:1], s[40:41], s[0:1]
	s_mul_u64 s[40:41], s[14:15], s[8:9]
	s_sub_co_i32 s3, s3, vcc_lo
	s_add_nc_u64 s[40:41], s[48:49], s[40:41]
	s_mul_u64 s[48:49], s[14:15], s[6:7]
	s_delay_alu instid0(SALU_CYCLE_1) | instskip(SKIP_1) | instid1(SALU_CYCLE_1)
	s_add_nc_u64 s[48:49], s[54:55], s[48:49]
	s_mul_u64 s[54:55], s[14:15], s[24:25]
	s_add_nc_u64 s[54:55], s[72:73], s[54:55]
	s_mul_u64 s[72:73], s[14:15], s[102:103]
	s_delay_alu instid0(SALU_CYCLE_1) | instskip(SKIP_1) | instid1(SALU_CYCLE_1)
	s_add_nc_u64 s[72:73], s[42:43], s[72:73]
	s_mul_u64 s[42:43], s[14:15], s[18:19]
	s_add_nc_u64 s[74:75], s[30:31], s[42:43]
	s_mul_u64 s[30:31], s[14:15], s[100:101]
	v_readlane_b32 s42, v18, 10
	s_add_nc_u64 s[46:47], s[46:47], s[30:31]
	s_mul_u64 s[30:31], s[14:15], s[96:97]
	v_readlane_b32 s43, v18, 11
	s_add_nc_u64 s[52:53], s[52:53], s[30:31]
	s_mul_u64 s[30:31], s[14:15], s[98:99]
	s_mul_u64 s[14:15], s[14:15], s[94:95]
	s_add_nc_u64 s[76:77], s[56:57], s[30:31]
	s_add_nc_u64 s[78:79], s[66:67], s[14:15]
	s_add_co_i32 s66, s3, 0xffffefc
	v_readlane_b32 s56, v18, 10
	s_lshl_b32 s42, s66, 1
	v_readlane_b32 s57, v18, 11
	s_mul_u64 s[14:15], s[42:43], s[12:13]
	s_delay_alu instid0(SALU_CYCLE_1)
	s_add_nc_u64 s[20:21], s[20:21], s[14:15]
	s_lshr_b64 s[14:15], s[0:1], 26
	v_readlane_b32 s1, v18, 24
	s_add_nc_u64 s[30:31], s[40:41], s[14:15]
	s_and_b32 s0, s0, 0x3ffffff
	s_and_b32 s86, s1, 0x3ffffff
	s_delay_alu instid0(SALU_CYCLE_1) | instskip(SKIP_4) | instid1(SALU_CYCLE_1)
	s_sub_co_i32 s1, s2, s86
	v_readlane_b32 s2, v18, 10
	s_add_co_i32 s26, s1, 0xffffffc
	v_readlane_b32 s3, v18, 11
	s_lshl_b32 s56, s26, 1
	s_mul_u64 s[80:81], s[56:57], s[10:11]
	s_delay_alu instid0(SALU_CYCLE_1) | instskip(SKIP_1) | instid1(SALU_CYCLE_1)
	s_add_nc_u64 s[80:81], s[20:21], s[80:81]
	s_mul_u64 s[20:21], s[56:57], s[12:13]
	s_add_nc_u64 s[40:41], s[62:63], s[20:21]
	s_lshr_b64 s[20:21], s[30:31], 26
	s_and_b32 s30, s30, 0x3ffffff
	s_mov_b32 s31, s3
	s_add_nc_u64 s[48:49], s[48:49], s[20:21]
	s_mul_u64 s[20:21], s[30:31], 0x3d10
	v_readlane_b32 s2, v18, 10
	v_readlane_b32 s3, v18, 11
	s_add_nc_u64 s[20:21], s[20:21], s[16:17]
	s_lshl_b64 s[16:17], s[30:31], 10
	s_lshr_b64 s[30:31], s[48:49], 26
	s_add_nc_u64 s[16:17], s[70:71], s[16:17]
	s_add_nc_u64 s[62:63], s[68:69], s[30:31]
	s_lshr_b64 s[30:31], s[20:21], 26
	s_and_b32 s20, s20, 0x3ffffff
	s_add_nc_u64 s[16:17], s[16:17], s[30:31]
	s_and_b32 s30, s48, 0x3ffffff
	s_mov_b32 s31, s3
	v_readlane_b32 s2, v18, 10
	v_readlane_b32 s3, v18, 11
	s_lshl_b64 s[48:49], s[30:31], 10
	s_mul_u64 s[30:31], s[30:31], 0x3d10
	s_add_nc_u64 s[48:49], s[54:55], s[48:49]
	s_add_nc_u64 s[30:31], s[16:17], s[30:31]
	s_lshr_b64 s[16:17], s[62:63], 26
	s_delay_alu instid0(SALU_CYCLE_1)
	s_add_nc_u64 s[54:55], s[64:65], s[16:17]
	s_and_b32 s16, s62, 0x3ffffff
	s_mov_b32 s17, s3
	v_readlane_b32 s2, v18, 10
	s_mul_u64 s[62:63], s[16:17], 0x3d10
	s_lshl_b64 s[16:17], s[16:17], 10
	v_readlane_b32 s3, v18, 11
	s_add_nc_u64 s[48:49], s[48:49], s[62:63]
	s_add_nc_u64 s[62:63], s[72:73], s[16:17]
	s_lshr_b64 s[16:17], s[30:31], 26
	s_delay_alu instid0(SALU_CYCLE_1) | instskip(SKIP_1) | instid1(SALU_CYCLE_1)
	s_add_nc_u64 s[16:17], s[48:49], s[16:17]
	s_lshr_b64 s[48:49], s[54:55], 26
	s_add_nc_u64 s[48:49], s[50:51], s[48:49]
	s_and_b32 s50, s54, 0x3ffffff
	s_mov_b32 s51, s3
	v_readlane_b32 s2, v18, 10
	v_readlane_b32 s3, v18, 11
	s_mul_u64 s[54:55], s[50:51], 0x3d10
	s_lshl_b64 s[50:51], s[50:51], 10
	s_add_nc_u64 s[54:55], s[62:63], s[54:55]
	s_lshr_b64 s[62:63], s[16:17], 26
	s_add_nc_u64 s[50:51], s[74:75], s[50:51]
	s_add_nc_u64 s[54:55], s[54:55], s[62:63]
	s_lshr_b64 s[62:63], s[48:49], 26
	s_and_b32 s48, s48, 0x3ffffff
	s_mov_b32 s49, s3
	v_readlane_b32 s2, v18, 10
	v_readlane_b32 s3, v18, 11
	s_add_nc_u64 s[36:37], s[36:37], s[62:63]
	s_mul_u64 s[62:63], s[48:49], 0x3d10
	s_lshl_b64 s[48:49], s[48:49], 10
	s_add_nc_u64 s[50:51], s[50:51], s[62:63]
	s_add_nc_u64 s[46:47], s[46:47], s[48:49]
	s_lshr_b64 s[48:49], s[54:55], 26
	s_delay_alu instid0(SALU_CYCLE_1)
	s_add_nc_u64 s[48:49], s[50:51], s[48:49]
	s_lshr_b64 s[50:51], s[36:37], 26
	s_and_b32 s36, s36, 0x3ffffff
	s_mov_b32 s37, s3
	v_readlane_b32 s2, v18, 10
	v_readlane_b32 s3, v18, 11
	s_add_nc_u64 s[50:51], s[60:61], s[50:51]
	s_mul_u64 s[60:61], s[36:37], 0x3d10
	s_lshl_b64 s[36:37], s[36:37], 10
	s_add_nc_u64 s[46:47], s[46:47], s[60:61]
	s_add_nc_u64 s[36:37], s[52:53], s[36:37]
	s_lshr_b64 s[52:53], s[48:49], 26
	s_delay_alu instid0(SALU_CYCLE_1)
	s_add_nc_u64 s[46:47], s[46:47], s[52:53]
	s_lshr_b64 s[52:53], s[50:51], 26
	s_and_b32 s50, s50, 0x3ffffff
	s_mov_b32 s51, s3
	v_readlane_b32 s2, v18, 10
	v_readlane_b32 s3, v18, 11
	s_add_nc_u64 s[52:53], s[58:59], s[52:53]
	s_mul_u64 s[58:59], s[50:51], 0x3d10
	s_lshr_b64 s[60:61], s[52:53], 26
	s_add_nc_u64 s[36:37], s[36:37], s[58:59]
	s_lshr_b64 s[58:59], s[46:47], 26
	s_lshl_b64 s[50:51], s[50:51], 10
	s_add_nc_u64 s[36:37], s[36:37], s[58:59]
	s_mul_u64 s[58:59], s[2:3], s[6:7]
	v_readlane_b32 s2, v18, 10
	v_readlane_b32 s3, v18, 11
	s_add_nc_u64 s[58:59], s[60:61], s[58:59]
	s_and_b32 s52, s52, 0x3ffffff
	s_and_b32 s4, s46, 0x3ffffff
	s_add_nc_u64 s[50:51], s[76:77], s[50:51]
	s_mov_b32 s53, s3
	v_readlane_b32 s2, v18, 10
	s_and_b32 s2, s58, 0x3ffffff
	v_readlane_b32 s3, v18, 11
	v_writelane_b32 v18, s2, 10
	s_mul_u64 s[60:61], s[52:53], 0x3d10
	s_lshl_b64 s[52:53], s[52:53], 10
	s_add_nc_u64 s[50:51], s[50:51], s[60:61]
	s_lshr_b64 s[60:61], s[36:37], 26
	v_writelane_b32 v18, s3, 11
	s_add_nc_u64 s[50:51], s[50:51], s[60:61]
	s_add_nc_u64 s[52:53], s[78:79], s[52:53]
	s_lshr_b64 s[58:59], s[58:59], 26
	s_delay_alu instid0(VALU_DEP_1)
	v_readlane_b32 s5, v18, 18
	v_readlane_b32 s2, v18, 10
	;; [unrolled: 1-line block ×5, first 2 shown]
	s_and_b32 s6, s5, 0x3ffffff
	v_readlane_b32 s15, v18, 26
	v_writelane_b32 v17, s6, 22
	s_sub_co_i32 s4, s4, s6
	s_mul_u64 s[60:61], s[2:3], 0x3d10
	v_readlane_b32 s2, v18, 10
	v_readlane_b32 s3, v18, 11
	v_writelane_b32 v17, s7, 23
	s_add_co_i32 s6, s4, 0xffffffc
	v_readlane_b32 s4, v18, 10
	v_readlane_b32 s4, v19, 8
	;; [unrolled: 1-line block ×3, first 2 shown]
	s_mov_b32 s1, s3
	s_and_b32 s3, s48, 0x3ffffff
	s_and_b32 s2, s54, 0x3ffffff
	;; [unrolled: 1-line block ×3, first 2 shown]
	s_mov_b32 s7, s5
	v_writelane_b32 v17, s4, 14
	s_sub_co_i32 s3, s3, s4
	s_add_nc_u64 s[52:53], s[52:53], s[60:61]
	s_add_co_i32 s24, s3, 0xffffffc
	v_readlane_b32 s3, v19, 22
	v_writelane_b32 v17, s5, 15
	v_readlane_b32 s4, v18, 10
	v_readlane_b32 s5, v18, 11
	s_mul_u64 s[60:61], s[58:59], 0x3d10
	s_and_b32 s4, s3, 0x3ffffff
	s_add_nc_u64 s[0:1], s[60:61], s[0:1]
	s_lshl_b64 s[58:59], s[58:59], 14
	s_mov_b32 s25, s5
	v_writelane_b32 v17, s4, 12
	s_sub_co_i32 s2, s2, s4
	s_mul_u64 s[48:49], s[24:25], s[24:25]
	s_add_co_i32 s14, s2, 0xffffffc
	v_readlane_b32 s2, v18, 10
	s_lshl_b32 s46, s14, 1
	v_readlane_b32 s3, v18, 11
	s_mul_u64 s[54:55], s[6:7], s[46:47]
	v_writelane_b32 v17, s5, 13
	s_add_nc_u64 s[48:49], s[54:55], s[48:49]
	s_lshr_b64 s[54:55], s[50:51], 26
	s_delay_alu instid0(SALU_CYCLE_1)
	s_add_nc_u64 s[52:53], s[52:53], s[54:55]
	s_lshl_b64 s[54:55], s[2:3], 10
	v_readlane_b32 s3, v18, 22
	s_and_b32 s2, s36, 0x3ffffff
	s_add_nc_u64 s[0:1], s[0:1], s[54:55]
	v_readlane_b32 s54, v18, 10
	v_readlane_b32 s55, v18, 11
	s_and_b32 s4, s3, 0x3ffffff
	s_lshl_b32 s54, s24, 1
	v_writelane_b32 v19, s4, 24
	s_sub_co_i32 s2, s2, s4
	s_mul_u64 s[60:61], s[6:7], s[54:55]
	v_writelane_b32 v19, s5, 25
	s_add_co_i32 s4, s2, 0xffffffc
	v_readlane_b32 s2, v18, 10
	v_readlane_b32 s3, v18, 11
	s_and_b32 s2, s50, 0x3ffffff
	s_mov_b32 s5, s3
	v_readlane_b32 s3, v18, 20
	s_mul_u64 s[62:63], s[4:5], s[46:47]
	s_mul_u64 s[64:65], s[4:5], s[54:55]
	s_add_nc_u64 s[60:61], s[62:63], s[60:61]
	s_mul_u64 s[62:63], s[6:7], s[6:7]
	s_and_b32 s8, s3, 0x3ffffff
	s_add_nc_u64 s[62:63], s[64:65], s[62:63]
	v_writelane_b32 v19, s8, 22
	s_sub_co_i32 s2, s2, s8
	s_lshr_b64 s[64:65], s[52:53], 26
	s_mov_b64 s[38:39], s[4:5]
	s_add_nc_u64 s[0:1], s[0:1], s[64:65]
	v_writelane_b32 v19, s9, 23
	s_add_co_i32 s8, s2, 0xffffffc
	v_readlane_b32 s2, v18, 10
	v_readlane_b32 s3, v18, 11
	s_and_b32 s2, s15, 0x3ffffff
	s_mov_b32 s9, s3
	v_writelane_b32 v19, s2, 8
	s_mul_u64 s[50:51], s[8:9], s[46:47]
	s_mul_u64 s[68:69], s[8:9], s[54:55]
	s_add_nc_u64 s[50:51], s[62:63], s[50:51]
	v_readlane_b32 s62, v18, 10
	v_readlane_b32 s63, v18, 11
	s_lshl_b32 s62, s6, 1
	v_writelane_b32 v19, s3, 9
	s_mov_b64 s[78:79], s[8:9]
	s_mul_u64 s[64:65], s[4:5], s[62:63]
	s_mul_u64 s[70:71], s[8:9], s[62:63]
	s_add_nc_u64 s[64:65], s[68:69], s[64:65]
	s_mul_u64 s[68:69], s[4:5], s[4:5]
	s_delay_alu instid0(SALU_CYCLE_1)
	s_add_nc_u64 s[68:69], s[70:71], s[68:69]
	s_lshr_b64 s[70:71], s[0:1], 22
	s_and_b32 s1, s52, 0x3ffffff
	s_add_nc_u64 s[58:59], s[70:71], s[58:59]
	s_sub_co_i32 s1, s1, s2
	v_readlane_b32 s2, v18, 10
	v_readlane_b32 s3, v18, 11
	s_add_co_i32 s4, s1, 0xffffffc
	v_readlane_b32 s1, v17, 10
	s_and_b32 s0, s0, 0x3fffff
	s_mov_b32 s5, s3
	v_readlane_b32 s2, v18, 10
	s_mul_u64 s[52:53], s[4:5], s[46:47]
	v_readlane_b32 s3, v18, 11
	s_add_nc_u64 s[52:53], s[64:65], s[52:53]
	s_mul_u64 s[64:65], s[4:5], s[54:55]
	s_mul_u64 s[72:73], s[4:5], s[62:63]
	s_add_nc_u64 s[64:65], s[68:69], s[64:65]
	v_readlane_b32 s68, v18, 10
	v_readlane_b32 s69, v18, 11
	s_lshl_b32 s68, s38, 1
	s_mov_b32 s21, s3
	v_readlane_b32 s2, v18, 10
	v_readlane_b32 s3, v18, 11
	s_mul_u64 s[70:71], s[8:9], s[68:69]
	s_mul_u64 s[76:77], s[4:5], s[68:69]
	s_add_nc_u64 s[70:71], s[72:73], s[70:71]
	s_mul_u64 s[72:73], s[8:9], s[8:9]
	s_and_b32 s1, s1, 0x3fffff
	s_lshr_b32 s2, s15, 26
	s_add_nc_u64 s[72:73], s[76:77], s[72:73]
	s_mul_u64 s[76:77], s[58:59], 0x3d1
	s_add_co_i32 s2, s2, s1
	s_add_nc_u64 s[76:77], s[76:77], s[20:21]
	s_mov_b32 s21, s3
	v_writelane_b32 v16, s2, 6
	s_sub_co_i32 s0, s0, s2
	s_and_b32 s20, s30, 0x3ffffff
	s_lshl_b64 s[30:31], s[58:59], 6
	s_mov_b64 s[22:23], s[4:5]
	v_writelane_b32 v16, s3, 7
	s_add_co_i32 s2, s0, 0xfffffc
	v_readlane_b32 s0, v18, 10
	v_readlane_b32 s1, v18, 11
	s_add_nc_u64 s[58:59], s[30:31], s[20:21]
	s_mov_b32 s3, s1
	s_delay_alu instid0(SALU_CYCLE_1)
	s_mul_u64 s[0:1], s[2:3], s[46:47]
	s_mov_b64 s[36:37], s[2:3]
	s_add_nc_u64 s[64:65], s[64:65], s[0:1]
	s_mul_u64 s[0:1], s[2:3], s[54:55]
	v_readlane_b32 s54, v18, 10
	v_readlane_b32 s55, v18, 11
	s_add_nc_u64 s[30:31], s[70:71], s[0:1]
	s_mul_u64 s[0:1], s[2:3], s[62:63]
	s_lshl_b32 s54, s78, 1
	s_add_nc_u64 s[20:21], s[72:73], s[0:1]
	s_mul_u64 s[0:1], s[2:3], s[68:69]
	s_mul_u64 s[62:63], s[4:5], s[54:55]
	;; [unrolled: 1-line block ×3, first 2 shown]
	s_add_nc_u64 s[0:1], s[0:1], s[62:63]
	s_mul_u64 s[62:63], s[4:5], s[4:5]
	v_readlane_b32 s4, v17, 16
	s_and_b32 s3, s76, 0x3ffffff
	s_add_nc_u64 s[74:75], s[54:55], s[62:63]
	s_lshr_b64 s[54:55], s[76:77], 26
	s_and_b32 s2, s16, 0x3ffffff
	s_and_b32 s4, s4, 0x3ffffff
	s_add_nc_u64 s[54:55], s[58:59], s[54:55]
	v_writelane_b32 v17, s4, 16
	s_sub_co_i32 s3, s3, s4
	s_lshr_b64 s[16:17], s[54:55], 26
	s_add_co_i32 s8, s3, 0xffff0bc
	s_add_co_i32 s2, s16, s2
	v_writelane_b32 v17, s5, 17
	v_readlane_b32 s4, v18, 10
	s_lshl_b32 s4, s8, 1
	v_readlane_b32 s5, v18, 11
	v_writelane_b32 v18, s4, 10
	s_mul_u64 s[46:47], s[24:25], s[46:47]
	s_and_b32 s3, s54, 0x3ffffff
	v_writelane_b32 v18, s5, 11
	s_delay_alu instid0(VALU_DEP_1)
	v_readlane_b32 s4, v18, 10
	v_readlane_b32 s5, v18, 11
	;; [unrolled: 1-line block ×4, first 2 shown]
	s_mul_u64 s[16:17], s[4:5], s[36:37]
	v_readlane_b32 s4, v18, 10
	v_readlane_b32 s5, v18, 11
	s_mov_b32 s4, s14
	s_add_nc_u64 s[16:17], s[60:61], s[16:17]
	s_mul_u64 s[58:59], s[4:5], s[4:5]
	s_mov_b64 s[28:29], s[4:5]
	v_readlane_b32 s4, v18, 10
	v_readlane_b32 s5, v18, 11
	s_mul_u64 s[60:61], s[4:5], s[38:39]
	v_readlane_b32 s4, v18, 10
	v_readlane_b32 s5, v18, 11
	s_add_nc_u64 s[58:59], s[60:61], s[58:59]
	s_mul_u64 s[60:61], s[4:5], s[78:79]
	v_readlane_b32 s4, v18, 10
	v_readlane_b32 s5, v18, 11
	s_add_nc_u64 s[46:47], s[60:61], s[46:47]
	s_mul_u64 s[60:61], s[4:5], s[22:23]
	v_readlane_b32 s4, v17, 18
	s_add_nc_u64 s[48:49], s[48:49], s[60:61]
	s_and_b32 s4, s4, 0x3ffffff
	s_delay_alu instid0(SALU_CYCLE_1) | instskip(SKIP_1) | instid1(SALU_CYCLE_1)
	v_writelane_b32 v17, s4, 18
	s_sub_co_i32 s3, s3, s4
	s_add_co_i32 s14, s3, 0xffffefc
	v_writelane_b32 v17, s5, 19
	v_readlane_b32 s4, v18, 10
	v_readlane_b32 s5, v18, 11
	s_lshl_b32 s54, s14, 1
	v_readlane_b32 s3, v17, 8
	s_mul_u64 s[60:61], s[54:55], s[22:23]
	s_mov_b32 s15, s5
	s_add_nc_u64 s[16:17], s[16:17], s[60:61]
	s_mul_u64 s[60:61], s[54:55], s[36:37]
	s_and_b32 s4, s3, 0x3ffffff
	s_add_nc_u64 s[50:51], s[50:51], s[60:61]
	v_writelane_b32 v17, s4, 10
	s_sub_co_i32 s2, s2, s4
	s_mul_u64 s[60:61], s[14:15], s[14:15]
	s_mul_u64 s[72:73], s[54:55], s[24:25]
	v_writelane_b32 v16, s14, 0
	v_writelane_b32 v17, s5, 11
	s_add_co_i32 s4, s2, 0xffffffc
	v_readlane_b32 s2, v18, 10
	v_readlane_b32 s3, v18, 11
	v_writelane_b32 v16, s15, 1
	s_mov_b32 s5, s3
	v_readlane_b32 s2, v18, 10
	v_readlane_b32 s3, v18, 11
	s_mul_u64 s[68:69], s[4:5], s[54:55]
	s_mul_u64 s[70:71], s[4:5], s[4:5]
	s_mul_u64 s[62:63], s[4:5], s[2:3]
	v_readlane_b32 s2, v18, 10
	v_readlane_b32 s3, v18, 11
	s_add_nc_u64 s[60:61], s[62:63], s[60:61]
	v_writelane_b32 v17, s4, 28
	s_mul_u64 s[62:63], s[2:3], s[28:29]
	v_readlane_b32 s2, v18, 10
	v_readlane_b32 s3, v18, 11
	s_add_nc_u64 s[62:63], s[68:69], s[62:63]
	v_writelane_b32 v17, s5, 29
	s_mul_u64 s[68:69], s[2:3], s[24:25]
	;; [unrolled: 5-line block ×3, first 2 shown]
	s_delay_alu instid0(SALU_CYCLE_1)
	s_add_nc_u64 s[70:71], s[72:73], s[70:71]
	s_mul_u64 s[72:73], s[54:55], s[6:7]
	v_writelane_b32 v18, s6, 18
	s_add_nc_u64 s[58:59], s[58:59], s[72:73]
	v_writelane_b32 v17, s25, 25
	v_writelane_b32 v18, s7, 19
	;; [unrolled: 1-line block ×4, first 2 shown]
	s_mul_u64 s[72:73], s[54:55], s[38:39]
	v_writelane_b32 v17, s29, 27
	s_add_nc_u64 s[46:47], s[46:47], s[72:73]
	v_writelane_b32 v18, s39, 23
	v_writelane_b32 v18, s78, 20
	s_mul_u64 s[72:73], s[54:55], s[78:79]
	s_delay_alu instid0(SALU_CYCLE_1) | instskip(SKIP_1) | instid1(VALU_DEP_1)
	s_add_nc_u64 s[48:49], s[48:49], s[72:73]
	v_writelane_b32 v18, s79, 21
	v_readlane_b32 s72, v18, 10
	v_readlane_b32 s73, v18, 11
	s_lshl_b32 s72, s4, 1
	s_delay_alu instid0(SALU_CYCLE_1) | instskip(NEXT) | instid1(SALU_CYCLE_1)
	s_mul_u64 s[76:77], s[72:73], s[78:79]
	s_add_nc_u64 s[18:19], s[16:17], s[76:77]
	s_mul_u64 s[16:17], s[72:73], s[22:23]
	v_writelane_b32 v18, s22, 24
	s_add_nc_u64 s[16:17], s[50:51], s[16:17]
	s_mul_u64 s[50:51], s[72:73], s[36:37]
	s_delay_alu instid0(SALU_CYCLE_1)
	s_add_nc_u64 s[50:51], s[52:53], s[50:51]
	v_writelane_b32 v18, s23, 25
	s_mul_u64 s[52:53], s[54:55], s[28:29]
	s_mul_u64 s[54:55], s[72:73], s[28:29]
	s_add_nc_u64 s[52:53], s[68:69], s[52:53]
	s_add_nc_u64 s[68:69], s[70:71], s[54:55]
	v_readlane_b32 s2, v18, 10
	v_readlane_b32 s3, v18, 11
	s_mul_u64 s[54:55], s[72:73], s[24:25]
	s_delay_alu instid0(SALU_CYCLE_1)
	s_add_nc_u64 s[4:5], s[58:59], s[54:55]
	s_mul_u64 s[54:55], s[72:73], s[6:7]
	s_mov_b32 s9, s3
	s_add_nc_u64 s[54:55], s[46:47], s[54:55]
	s_mul_u64 s[46:47], s[72:73], s[38:39]
	v_readlane_b32 s2, v18, 10
	v_readlane_b32 s3, v18, 11
	s_add_nc_u64 s[6:7], s[48:49], s[46:47]
	s_lshr_b64 s[46:47], s[18:19], 26
	v_writelane_b32 v17, s8, 20
	s_add_nc_u64 s[16:17], s[16:17], s[46:47]
	s_mul_u64 s[48:49], s[8:9], s[8:9]
	s_lshr_b64 s[46:47], s[16:17], 26
	s_mov_b32 s17, s3
	v_readlane_b32 s2, v18, 10
	v_readlane_b32 s3, v18, 11
	s_and_b32 s16, s16, 0x3ffffff
	s_add_nc_u64 s[46:47], s[50:51], s[46:47]
	s_mul_u64 s[50:51], s[16:17], 0x3d10
	s_lshl_b64 s[16:17], s[16:17], 10
	s_add_nc_u64 s[28:29], s[50:51], s[48:49]
	s_mul_u64 s[48:49], s[14:15], s[2:3]
	v_readlane_b32 s2, v18, 10
	v_readlane_b32 s3, v18, 11
	s_add_nc_u64 s[16:17], s[16:17], s[48:49]
	s_lshr_b64 s[48:49], s[46:47], 26
	s_lshr_b64 s[50:51], s[28:29], 26
	s_and_b32 s46, s46, 0x3ffffff
	s_mov_b32 s47, s3
	v_readlane_b32 s2, v18, 10
	v_readlane_b32 s3, v18, 11
	s_add_nc_u64 s[48:49], s[64:65], s[48:49]
	s_add_nc_u64 s[16:17], s[16:17], s[50:51]
	s_lshl_b64 s[50:51], s[46:47], 10
	s_mul_u64 s[46:47], s[46:47], 0x3d10
	s_add_nc_u64 s[50:51], s[60:61], s[50:51]
	s_add_nc_u64 s[38:39], s[16:17], s[46:47]
	s_lshr_b64 s[16:17], s[48:49], 26
	v_writelane_b32 v17, s9, 21
	s_add_nc_u64 s[16:17], s[30:31], s[16:17]
	s_and_b32 s30, s48, 0x3ffffff
	s_mov_b32 s31, s3
	v_readlane_b32 s2, v18, 10
	v_readlane_b32 s3, v18, 11
	s_mul_u64 s[46:47], s[30:31], 0x3d10
	s_lshr_b64 s[48:49], s[38:39], 26
	s_add_nc_u64 s[46:47], s[50:51], s[46:47]
	s_lshl_b64 s[30:31], s[30:31], 10
	s_add_nc_u64 s[24:25], s[46:47], s[48:49]
	s_lshr_b64 s[46:47], s[16:17], 26
	s_and_b32 s16, s16, 0x3ffffff
	s_mov_b32 s17, s3
	s_add_nc_u64 s[30:31], s[62:63], s[30:31]
	s_add_nc_u64 s[14:15], s[20:21], s[46:47]
	s_mul_u64 s[20:21], s[16:17], 0x3d10
	s_lshl_b64 s[16:17], s[16:17], 10
	s_add_nc_u64 s[2:3], s[30:31], s[20:21]
	s_lshr_b64 s[30:31], s[24:25], 26
	s_add_nc_u64 s[20:21], s[52:53], s[16:17]
	s_add_nc_u64 s[46:47], s[2:3], s[30:31]
	v_readlane_b32 s2, v18, 10
	v_readlane_b32 s3, v18, 11
	s_lshr_b64 s[16:17], s[14:15], 26
	s_lshr_b64 s[30:31], s[46:47], 26
	s_add_nc_u64 s[8:9], s[0:1], s[16:17]
	s_and_b32 s0, s14, 0x3ffffff
	s_mov_b32 s1, s3
	v_readlane_b32 s2, v18, 10
	v_readlane_b32 s3, v18, 11
	s_mul_u64 s[16:17], s[0:1], 0x3d10
	s_lshl_b64 s[0:1], s[0:1], 10
	s_add_nc_u64 s[16:17], s[20:21], s[16:17]
	s_add_nc_u64 s[0:1], s[68:69], s[0:1]
	;; [unrolled: 1-line block ×3, first 2 shown]
	s_and_b32 s30, s8, 0x3ffffff
	s_mov_b32 s31, s3
	s_mov_b32 s14, s46
	s_mul_u64 s[46:47], s[30:31], 0x3d10
	s_lshr_b64 s[20:21], s[8:9], 26
	s_add_nc_u64 s[0:1], s[0:1], s[46:47]
	v_readlane_b32 s46, v18, 10
	v_readlane_b32 s47, v18, 11
	v_writelane_b32 v18, s36, 26
	s_add_nc_u64 s[20:21], s[74:75], s[20:21]
	s_lshl_b64 s[30:31], s[30:31], 10
	s_lshl_b32 s46, s22, 1
	s_mov_b32 s15, s16
	v_writelane_b32 v18, s37, 27
	s_lshr_b64 s[16:17], s[16:17], 26
	s_add_nc_u64 s[30:31], s[4:5], s[30:31]
	s_mul_u64 s[46:47], s[46:47], s[36:37]
	s_lshr_b64 s[48:49], s[20:21], 26
	v_readlane_b32 s2, v18, 10
	v_readlane_b32 s3, v18, 11
	s_add_nc_u64 s[4:5], s[0:1], s[16:17]
	s_and_b32 s0, s20, 0x3ffffff
	s_add_nc_u64 s[46:47], s[48:49], s[46:47]
	v_writelane_b32 v16, s4, 30
	s_mov_b32 s1, s3
	v_readlane_b32 s2, v18, 10
	s_mul_u64 s[16:17], s[0:1], 0x3d10
	v_readlane_b32 s3, v18, 11
	s_add_nc_u64 s[16:17], s[30:31], s[16:17]
	s_mul_u64 s[20:21], s[36:37], s[36:37]
	s_lshr_b64 s[30:31], s[46:47], 26
	v_writelane_b32 v16, s5, 31
	s_add_nc_u64 s[20:21], s[30:31], s[20:21]
	s_lshr_b64 s[30:31], s[4:5], 26
	s_lshl_b64 s[0:1], s[0:1], 10
	s_add_nc_u64 s[4:5], s[16:17], s[30:31]
	s_mov_b32 s17, s3
	v_readlane_b32 s2, v18, 10
	s_and_b32 s2, s20, 0x3ffffff
	v_readlane_b32 s3, v18, 11
	v_writelane_b32 v18, s2, 10
	s_and_b32 s16, s46, 0x3ffffff
	s_add_nc_u64 s[0:1], s[54:55], s[0:1]
	s_mul_u64 s[30:31], s[16:17], 0x3d10
	v_writelane_b32 v17, s14, 8
	v_writelane_b32 v18, s3, 11
	s_add_nc_u64 s[0:1], s[0:1], s[30:31]
	s_lshr_b64 s[30:31], s[4:5], 26
	s_lshl_b64 s[16:17], s[16:17], 10
	s_add_nc_u64 s[0:1], s[0:1], s[30:31]
	v_readlane_b32 s2, v18, 10
	v_readlane_b32 s3, v18, 11
	s_add_nc_u64 s[16:17], s[6:7], s[16:17]
	v_writelane_b32 v17, s15, 9
	s_lshr_b64 s[20:21], s[20:21], 26
	s_mov_b32 s6, s26
	s_mul_u64 s[30:31], s[2:3], 0x3d10
	v_readlane_b32 s2, v18, 10
	v_readlane_b32 s3, v18, 11
	s_add_nc_u64 s[16:17], s[16:17], s[30:31]
	s_and_b32 s30, s18, 0x3ffffff
	s_mul_u64 s[46:47], s[20:21], 0x3d10
	s_mov_b32 s14, s4
	s_mov_b32 s31, s3
	v_readlane_b32 s2, v18, 10
	v_readlane_b32 s3, v18, 11
	s_add_nc_u64 s[30:31], s[46:47], s[30:31]
	s_mov_b32 s4, s66
	s_mov_b32 s15, s0
	s_lshr_b64 s[0:1], s[0:1], 26
	s_lshl_b64 s[46:47], s[2:3], 10
	v_readlane_b32 s3, v17, 4
	s_and_b32 s2, s82, 0x3ffffff
	s_add_nc_u64 s[46:47], s[30:31], s[46:47]
	s_lshl_b64 s[20:21], s[20:21], 14
	v_writelane_b32 v15, s14, 0
	s_and_b32 s36, s3, 0x3ffffff
	s_mov_b64 s[30:31], s[10:11]
	s_sub_co_i32 s2, s2, s36
	s_mov_b64 s[18:19], s[12:13]
	s_add_co_i32 s8, s2, 0xffff0bc
	v_readlane_b32 s2, v18, 10
	s_lshl_b32 s2, s8, 1
	v_readlane_b32 s3, v18, 11
	v_writelane_b32 v18, s2, 10
	v_writelane_b32 v15, s15, 1
	s_delay_alu instid0(VALU_DEP_3) | instskip(NEXT) | instid1(VALU_DEP_1)
	v_writelane_b32 v18, s3, 11
	v_readlane_b32 s2, v18, 10
	v_readlane_b32 s3, v18, 11
	;; [unrolled: 1-line block ×6, first 2 shown]
	s_mul_u64 s[48:49], s[2:3], s[12:13]
	v_readlane_b32 s2, v16, 2
	v_readlane_b32 s3, v16, 3
	s_mul_u64 s[44:45], s[96:97], s[44:45]
	s_add_nc_u64 s[48:49], s[2:3], s[48:49]
	v_readlane_b32 s2, v18, 10
	v_readlane_b32 s3, v18, 11
	s_mov_b32 s5, s3
	v_readlane_b32 s2, v18, 10
	v_readlane_b32 s3, v18, 11
	s_mul_u64 s[50:51], s[4:5], s[4:5]
	s_mov_b32 s7, s3
	v_readlane_b32 s2, v18, 10
	v_readlane_b32 s3, v18, 11
	s_mov_b64 s[26:27], s[6:7]
	s_delay_alu instid0(SALU_CYCLE_1)
	s_mov_b64 s[74:75], s[26:27]
	s_mul_u64 s[52:53], s[6:7], s[2:3]
	v_readlane_b32 s2, v18, 10
	v_readlane_b32 s3, v18, 11
	s_add_nc_u64 s[50:51], s[52:53], s[50:51]
	s_mul_u64 s[52:53], s[6:7], s[42:43]
	s_mov_b32 s35, s3
	v_readlane_b32 s2, v18, 10
	v_readlane_b32 s3, v18, 11
	s_mov_b64 s[98:99], s[34:35]
	s_mul_u64 s[54:55], s[2:3], s[34:35]
	v_readlane_b32 s2, v18, 10
	v_readlane_b32 s3, v18, 11
	s_add_nc_u64 s[54:55], s[52:53], s[54:55]
	s_mul_u64 s[52:53], s[6:7], s[6:7]
	v_readlane_b32 s6, v17, 2
	v_readlane_b32 s7, v17, 3
	s_mul_u64 s[60:61], s[2:3], s[96:97]
	v_readlane_b32 s2, v18, 10
	v_readlane_b32 s3, v18, 11
	s_add_nc_u64 s[52:53], s[52:53], s[60:61]
	s_mul_u64 s[60:61], s[42:43], s[96:97]
	s_mul_u64 s[62:63], s[2:3], s[100:101]
	v_readlane_b32 s2, v18, 10
	v_readlane_b32 s3, v18, 11
	s_add_nc_u64 s[60:61], s[60:61], s[62:63]
	s_mul_u64 s[62:63], s[34:35], s[34:35]
	;; [unrolled: 5-line block ×3, first 2 shown]
	v_readlane_b32 s2, v18, 10
	v_readlane_b32 s3, v18, 11
	s_add_nc_u64 s[44:45], s[64:65], s[44:45]
	s_mul_u64 s[64:65], s[2:3], s[10:11]
	v_readlane_b32 s2, v16, 10
	v_readlane_b32 s3, v16, 11
	s_add_nc_u64 s[64:65], s[2:3], s[64:65]
	s_add_nc_u64 s[2:3], s[16:17], s[0:1]
	s_mul_u64 s[0:1], s[42:43], s[10:11]
	s_mul_u64 s[16:17], s[42:43], s[34:35]
	s_add_nc_u64 s[0:1], s[48:49], s[0:1]
	s_mul_u64 s[48:49], s[56:57], s[34:35]
	s_add_nc_u64 s[16:17], s[52:53], s[16:17]
	s_add_nc_u64 s[48:49], s[60:61], s[48:49]
	s_mul_u64 s[60:61], s[42:43], s[6:7]
	s_mul_u64 s[52:53], s[42:43], s[100:101]
	s_add_nc_u64 s[44:45], s[44:45], s[60:61]
	s_mul_u64 s[60:61], s[56:57], s[92:93]
	v_writelane_b32 v16, s2, 2
	s_add_nc_u64 s[52:53], s[62:63], s[52:53]
	s_add_nc_u64 s[90:91], s[0:1], s[60:61]
	s_mul_u64 s[0:1], s[56:57], s[96:97]
	s_mul_u64 s[42:43], s[42:43], s[92:93]
	s_add_nc_u64 s[0:1], s[52:53], s[0:1]
	s_mul_u64 s[52:53], s[56:57], s[100:101]
	s_add_nc_u64 s[42:43], s[64:65], s[42:43]
	s_add_nc_u64 s[60:61], s[44:45], s[52:53]
	s_mul_u64 s[44:45], s[56:57], s[6:7]
	v_writelane_b32 v16, s3, 3
	s_add_nc_u64 s[52:53], s[42:43], s[44:45]
	s_lshr_b64 s[42:43], s[2:3], 26
	v_readlane_b32 s62, v18, 10
	s_add_nc_u64 s[2:3], s[46:47], s[42:43]
	s_lshr_b64 s[42:43], s[90:91], 26
	v_writelane_b32 v16, s2, 10
	s_lshr_b64 s[44:45], s[2:3], 22
	s_add_nc_u64 s[42:43], s[80:81], s[42:43]
	s_add_nc_u64 s[20:21], s[44:45], s[20:21]
	s_lshr_b64 s[44:45], s[42:43], 26
	v_writelane_b32 v16, s3, 11
	v_readlane_b32 s2, v18, 10
	v_readlane_b32 s3, v18, 11
	s_add_nc_u64 s[46:47], s[40:41], s[44:45]
	s_and_b32 s44, s28, 0x3ffffff
	s_mul_u64 s[56:57], s[20:21], 0x3d1
	v_readlane_b32 s63, v18, 11
	s_mov_b32 s45, s3
	v_readlane_b32 s2, v18, 10
	v_readlane_b32 s3, v18, 11
	s_add_nc_u64 s[14:15], s[56:57], s[44:45]
	s_and_b32 s44, s38, 0x3ffffff
	s_lshl_b64 s[20:21], s[20:21], 6
	s_mov_b32 s62, s8
	s_mov_b32 s45, s3
	v_readlane_b32 s2, v18, 10
	v_readlane_b32 s3, v18, 11
	s_and_b32 s42, s42, 0x3ffffff
	s_add_nc_u64 s[20:21], s[20:21], s[44:45]
	s_mul_u64 s[44:45], s[62:63], s[62:63]
	s_mov_b64 s[34:35], s[6:7]
	s_mov_b32 s43, s3
	v_readlane_b32 s2, v18, 10
	v_readlane_b32 s3, v18, 11
	s_mul_u64 s[56:57], s[42:43], 0x3d10
	s_lshl_b64 s[42:43], s[42:43], 10
	s_add_nc_u64 s[6:7], s[56:57], s[44:45]
	v_writelane_b32 v15, s14, 2
	s_mul_u64 s[56:57], s[4:5], s[2:3]
	v_readlane_b32 s2, v16, 24
	v_readlane_b32 s3, v16, 25
	s_add_nc_u64 s[42:43], s[42:43], s[56:57]
	s_lshr_b64 s[56:57], s[46:47], 26
	v_writelane_b32 v15, s15, 3
	s_mov_b64 s[44:45], s[4:5]
	s_add_nc_u64 s[64:65], s[2:3], s[56:57]
	s_lshr_b64 s[56:57], s[14:15], 26
	v_readlane_b32 s2, v18, 10
	s_add_nc_u64 s[8:9], s[20:21], s[56:57]
	v_readlane_b32 s3, v18, 11
	v_writelane_b32 v16, s8, 24
	v_writelane_b32 v15, s6, 4
	s_lshr_b64 s[20:21], s[6:7], 26
	s_mov_b64 s[38:39], s[92:93]
	s_add_nc_u64 s[20:21], s[42:43], s[20:21]
	v_writelane_b32 v16, s9, 25
	s_and_b32 s42, s46, 0x3ffffff
	s_mov_b32 s43, s3
	v_writelane_b32 v15, s7, 5
	s_lshl_b64 s[46:47], s[42:43], 10
	v_readlane_b32 s2, v16, 26
	v_readlane_b32 s3, v16, 27
	s_mul_u64 s[42:43], s[42:43], 0x3d10
	s_add_nc_u64 s[46:47], s[50:51], s[46:47]
	s_add_nc_u64 s[6:7], s[20:21], s[42:43]
	s_lshr_b64 s[20:21], s[64:65], 26
	s_lshr_b64 s[42:43], s[8:9], 26
	s_add_nc_u64 s[20:21], s[2:3], s[20:21]
	s_and_b32 s2, s24, 0x3ffffff
	v_writelane_b32 v15, s6, 6
	s_add_co_i32 s33, s42, s2
	v_readlane_b32 s2, v18, 10
	v_readlane_b32 s3, v18, 11
	s_and_b32 s42, s64, 0x3ffffff
	s_mov_b64 s[40:41], s[96:97]
	s_mov_b64 s[28:29], s[34:35]
	v_writelane_b32 v15, s7, 7
	s_mov_b32 s43, s3
	v_readlane_b32 s2, v18, 10
	v_readlane_b32 s3, v18, 11
	s_mul_u64 s[50:51], s[42:43], 0x3d10
	s_lshl_b64 s[42:43], s[42:43], 10
	s_add_nc_u64 s[46:47], s[46:47], s[50:51]
	s_add_nc_u64 s[50:51], s[54:55], s[42:43]
	s_lshr_b64 s[42:43], s[6:7], 26
	s_mov_b64 s[22:23], s[38:39]
	s_add_nc_u64 s[8:9], s[46:47], s[42:43]
	s_lshr_b64 s[46:47], s[20:21], 26
	s_and_b32 s20, s20, 0x3ffffff
	s_mov_b32 s21, s3
	v_readlane_b32 s2, v18, 10
	v_readlane_b32 s3, v18, 11
	s_mul_u64 s[54:55], s[20:21], 0x3d10
	s_lshl_b64 s[20:21], s[20:21], 10
	v_writelane_b32 v17, s8, 4
	s_add_nc_u64 s[46:47], s[88:89], s[46:47]
	s_add_nc_u64 s[50:51], s[50:51], s[54:55]
	;; [unrolled: 1-line block ×3, first 2 shown]
	s_lshr_b64 s[20:21], s[8:9], 26
	v_writelane_b32 v17, s9, 5
	s_add_nc_u64 s[20:21], s[50:51], s[20:21]
	s_lshr_b64 s[50:51], s[46:47], 26
	s_and_b32 s46, s46, 0x3ffffff
	s_mov_b32 s47, s3
	v_readlane_b32 s2, v16, 28
	s_mul_u64 s[54:55], s[46:47], 0x3d10
	s_lshl_b64 s[46:47], s[46:47], 10
	v_readlane_b32 s3, v16, 29
	s_add_nc_u64 s[50:51], s[84:85], s[50:51]
	s_add_nc_u64 s[16:17], s[16:17], s[54:55]
	;; [unrolled: 1-line block ×3, first 2 shown]
	s_lshr_b64 s[48:49], s[20:21], 26
	v_readlane_b32 s66, v17, 30
	s_add_nc_u64 s[48:49], s[16:17], s[48:49]
	s_lshr_b64 s[16:17], s[50:51], 26
	s_and_b32 s50, s50, 0x3ffffff
	s_add_nc_u64 s[16:17], s[2:3], s[16:17]
	v_readlane_b32 s2, v18, 10
	v_readlane_b32 s3, v18, 11
	;; [unrolled: 1-line block ×3, first 2 shown]
	s_mov_b32 s51, s3
	v_readlane_b32 s2, v18, 10
	s_mul_u64 s[54:55], s[50:51], 0x3d10
	s_lshl_b64 s[50:51], s[50:51], 10
	s_add_nc_u64 s[46:47], s[46:47], s[54:55]
	s_add_nc_u64 s[0:1], s[0:1], s[50:51]
	s_lshr_b64 s[50:51], s[48:49], 26
	v_readlane_b32 s3, v18, 11
	s_add_nc_u64 s[46:47], s[46:47], s[50:51]
	v_readlane_b32 s50, v18, 10
	v_readlane_b32 s51, v18, 11
	s_lshl_b32 s50, s10, 1
	s_lshr_b64 s[54:55], s[16:17], 26
	s_and_b32 s16, s16, 0x3ffffff
	s_mov_b32 s17, s3
	s_mul_u64 s[50:51], s[50:51], s[12:13]
	v_readlane_b32 s2, v18, 10
	s_add_nc_u64 s[50:51], s[54:55], s[50:51]
	s_mul_u64 s[54:55], s[16:17], 0x3d10
	v_readlane_b32 s3, v18, 11
	s_add_nc_u64 s[54:55], s[0:1], s[54:55]
	s_lshl_b64 s[0:1], s[16:17], 10
	s_and_b32 s16, s20, 0x3ffffff
	s_add_nc_u64 s[64:65], s[60:61], s[0:1]
	v_readlane_b32 s0, v18, 10
	v_readlane_b32 s1, v18, 11
	s_and_b32 s0, s48, 0x3ffffff
	s_lshr_b64 s[24:25], s[50:51], 26
	s_and_b32 s50, s50, 0x3ffffff
	s_mov_b32 s17, s1
	s_mov_b32 s1, s3
	s_mul_u64 s[20:21], s[16:17], s[34:35]
	s_mul_u64 s[48:49], s[0:1], s[100:101]
	;; [unrolled: 1-line block ×3, first 2 shown]
	s_add_nc_u64 s[48:49], s[48:49], s[20:21]
	s_mul_u64 s[20:21], s[16:17], s[92:93]
	s_mul_u64 s[78:79], s[0:1], s[4:5]
	s_add_nc_u64 s[68:69], s[60:61], s[20:21]
	s_mul_u64 s[20:21], s[16:17], s[10:11]
	s_mul_u64 s[60:61], s[0:1], s[92:93]
	s_mul_u64 s[80:81], s[0:1], s[26:27]
	s_add_nc_u64 s[72:73], s[60:61], s[20:21]
	s_mul_u64 s[20:21], s[16:17], s[12:13]
	;; [unrolled: 4-line block ×4, first 2 shown]
	v_writelane_b32 v16, s2, 28
	s_add_nc_u64 s[78:79], s[78:79], s[60:61]
	s_mul_u64 s[60:61], s[16:17], s[98:99]
	s_mov_b64 s[20:21], s[98:99]
	s_add_nc_u64 s[80:81], s[80:81], s[60:61]
	v_writelane_b32 v16, s3, 29
	v_readlane_b32 s2, v18, 10
	v_readlane_b32 s3, v18, 11
	s_mul_u64 s[60:61], s[16:17], s[96:97]
	s_mov_b64 s[26:27], s[100:101]
	v_readlane_b32 s4, v16, 16
	v_readlane_b32 s5, v16, 17
	s_mov_b32 s5, s3
	v_readlane_b32 s2, v18, 10
	v_readlane_b32 s3, v18, 11
	;; [unrolled: 1-line block ×4, first 2 shown]
	s_add_nc_u64 s[84:85], s[84:85], s[60:61]
	s_mul_u64 s[60:61], s[16:17], s[100:101]
	s_mov_b32 s67, s3
	v_readlane_b32 s2, v18, 10
	v_readlane_b32 s3, v18, 11
	v_readlane_b32 s58, v16, 20
	v_readlane_b32 s59, v16, 21
	v_readlane_b32 s8, v16, 22
	s_add_nc_u64 s[88:89], s[88:89], s[60:61]
	s_mov_b32 s57, s3
	v_readlane_b32 s2, v18, 10
	v_readlane_b32 s3, v18, 11
	s_mul_u64 s[60:61], s[16:17], s[4:5]
	s_mul_u64 s[92:93], s[0:1], s[66:67]
	;; [unrolled: 1-line block ×3, first 2 shown]
	s_add_nc_u64 s[92:93], s[92:93], s[60:61]
	s_mov_b32 s59, s3
	v_readlane_b32 s2, v18, 10
	v_readlane_b32 s3, v18, 11
	s_mul_u64 s[60:61], s[16:17], s[56:57]
	s_mul_u64 s[96:97], s[0:1], s[56:57]
	s_add_nc_u64 s[94:95], s[94:95], s[60:61]
	s_mul_u64 s[60:61], s[16:17], s[58:59]
	s_mov_b32 s2, s8
	s_add_nc_u64 s[96:97], s[96:97], s[60:61]
	s_mul_u64 s[60:61], s[16:17], s[2:3]
	s_mov_b64 s[34:35], s[2:3]
	v_readlane_b32 s2, v18, 10
	v_readlane_b32 s3, v18, 11
	s_mov_b64 s[6:7], s[4:5]
	s_mul_u64 s[98:99], s[0:1], s[58:59]
	s_mov_b32 s4, vcc_lo
	s_add_nc_u64 s[98:99], s[98:99], s[60:61]
	s_mov_b32 s5, s3
	v_readlane_b32 s2, v18, 10
	v_readlane_b32 s3, v18, 11
	s_mov_b32 s2, s36
	s_mul_u64 s[60:61], s[16:17], s[4:5]
	s_mul_u64 s[102:103], s[0:1], s[4:5]
	s_mov_b64 s[82:83], s[4:5]
	s_mul_u64 s[100:101], s[0:1], s[2:3]
	s_mov_b64 s[42:43], s[2:3]
	s_add_nc_u64 s[2:3], s[100:101], s[60:61]
	v_readlane_b32 s4, v16, 14
	v_writelane_b32 v15, s2, 8
	v_readlane_b32 s5, v16, 15
	v_readlane_b32 s60, v16, 8
	;; [unrolled: 1-line block ×3, first 2 shown]
	s_mov_b64 s[14:15], s[20:21]
	v_writelane_b32 v15, s3, 9
	v_readlane_b32 s2, v18, 10
	v_readlane_b32 s3, v18, 11
	;; [unrolled: 1-line block ×3, first 2 shown]
	s_mov_b64 s[8:9], s[44:45]
	s_mov_b32 s87, s3
	v_readlane_b32 s2, v18, 10
	v_readlane_b32 s3, v18, 11
	s_mul_u64 s[100:101], s[16:17], s[86:87]
	s_mul_u64 vcc, s[0:1], s[86:87]
	s_add_nc_u64 s[100:101], s[102:103], s[100:101]
	s_mov_b64 s[36:37], s[86:87]
	s_mov_b32 s5, s3
	v_readlane_b32 s2, v18, 10
	v_readlane_b32 s3, v18, 11
	s_mul_u64 s[102:103], s[16:17], s[4:5]
	s_mul_u64 s[70:71], s[0:1], s[4:5]
	s_add_nc_u64 s[102:103], vcc, s[102:103]
	s_mov_b32 s61, s3
	v_readlane_b32 s2, v18, 10
	v_readlane_b32 s3, v18, 11
	s_mul_u64 vcc, s[16:17], s[60:61]
	s_mul_u64 s[86:87], s[0:1], s[60:61]
	s_add_nc_u64 s[70:71], s[70:71], vcc
	s_mul_u64 vcc, s[16:17], s[66:67]
	s_mov_b32 s51, s3
	v_readlane_b32 s2, v18, 10
	v_readlane_b32 s3, v18, 11
	s_add_nc_u64 s[86:87], s[86:87], vcc
	s_lshr_b64 vcc, s[46:47], 26
	s_and_b32 s46, s46, 0x3ffffff
	s_add_nc_u64 vcc, s[54:55], vcc
	s_mul_u64 s[54:55], s[12:13], s[12:13]
	s_mov_b32 s47, s3
	s_add_nc_u64 s[24:25], s[24:25], s[54:55]
	s_mul_u64 s[54:55], s[50:51], 0x3d10
	s_lshl_b64 s[50:51], s[50:51], 10
	s_add_nc_u64 s[54:55], s[64:65], s[54:55]
	s_add_nc_u64 s[50:51], s[52:53], s[50:51]
	s_mul_u64 s[52:53], s[46:47], s[40:41]
	s_mul_u64 s[64:65], s[46:47], s[28:29]
	s_add_nc_u64 s[48:49], s[48:49], s[52:53]
	s_mul_u64 s[52:53], s[46:47], s[26:27]
	s_add_nc_u64 s[64:65], s[72:73], s[64:65]
	s_add_nc_u64 s[52:53], s[68:69], s[52:53]
	s_mul_u64 s[68:69], s[46:47], s[38:39]
	s_mul_u64 s[72:73], s[0:1], s[12:13]
	s_add_nc_u64 s[68:69], s[76:77], s[68:69]
	s_mul_u64 s[76:77], s[46:47], s[10:11]
	s_mul_u64 s[0:1], s[0:1], s[34:35]
	s_add_nc_u64 s[72:73], s[76:77], s[72:73]
	s_mul_u64 s[76:77], s[46:47], s[62:63]
	s_mov_b64 s[10:11], s[62:63]
	s_add_nc_u64 s[76:77], s[78:79], s[76:77]
	s_mul_u64 s[78:79], s[46:47], s[44:45]
	s_and_b32 s62, s90, 0x3ffffff
	s_add_nc_u64 s[80:81], s[80:81], s[78:79]
	s_mul_u64 s[78:79], s[46:47], s[74:75]
	s_mov_b64 s[90:91], s[4:5]
	s_add_nc_u64 s[84:85], s[84:85], s[78:79]
	s_mul_u64 s[78:79], s[46:47], s[20:21]
	s_delay_alu instid0(SALU_CYCLE_1) | instskip(SKIP_1) | instid1(SALU_CYCLE_1)
	s_add_nc_u64 s[88:89], s[88:89], s[78:79]
	s_mul_u64 s[78:79], s[46:47], s[60:61]
	s_add_nc_u64 s[92:93], s[92:93], s[78:79]
	s_mul_u64 s[78:79], s[46:47], s[66:67]
	s_delay_alu instid0(SALU_CYCLE_1) | instskip(SKIP_1) | instid1(SALU_CYCLE_1)
	s_add_nc_u64 s[94:95], s[94:95], s[78:79]
	s_mul_u64 s[78:79], s[46:47], s[6:7]
	;; [unrolled: 5-line block ×3, first 2 shown]
	s_add_nc_u64 s[0:1], s[78:79], s[0:1]
	s_mul_u64 s[78:79], s[46:47], s[42:43]
	s_delay_alu instid0(SALU_CYCLE_1)
	s_add_nc_u64 s[2:3], s[100:101], s[78:79]
	s_mul_u64 s[100:101], s[46:47], s[82:83]
	v_writelane_b32 v15, s2, 10
	s_add_nc_u64 s[100:101], s[102:103], s[100:101]
	s_mul_u64 s[102:103], s[46:47], s[36:37]
	s_mov_b64 s[78:79], s[30:31]
	s_add_nc_u64 s[70:71], s[70:71], s[102:103]
	v_writelane_b32 v15, s3, 11
	v_readlane_b32 s2, v18, 10
	s_and_b32 s2, s24, 0x3ffffff
	v_readlane_b32 s3, v18, 11
	v_writelane_b32 v18, s2, 10
	s_mul_u64 s[102:103], s[46:47], s[4:5]
	s_delay_alu instid0(SALU_CYCLE_1) | instskip(SKIP_4) | instid1(VALU_DEP_1)
	s_add_nc_u64 s[86:87], s[86:87], s[102:103]
	s_lshr_b64 s[102:103], vcc, 26
	v_writelane_b32 v18, s3, 11
	s_add_nc_u64 s[102:103], s[54:55], s[102:103]
	s_and_b32 vcc_lo, vcc_lo, 0x3ffffff
	v_readlane_b32 s2, v18, 10
	v_readlane_b32 s3, v18, 11
	s_mul_u64 s[54:55], s[2:3], 0x3d10
	v_readlane_b32 s2, v18, 10
	v_readlane_b32 s3, v18, 11
	s_add_nc_u64 s[50:51], s[50:51], s[54:55]
	s_lshr_b64 s[54:55], s[24:25], 26
	s_delay_alu instid0(SALU_CYCLE_1)
	s_mul_u64 s[24:25], s[54:55], 0x3d10
	s_mov_b32 s63, s3
	v_readlane_b32 s2, v18, 10
	v_readlane_b32 s3, v18, 11
	s_add_nc_u64 s[62:63], s[24:25], s[62:63]
	s_lshl_b64 s[54:55], s[54:55], 14
	s_mov_b32 vcc_hi, s3
	s_delay_alu instid0(SALU_CYCLE_1)
	s_mul_u64 s[24:25], vcc, s[20:21]
	s_mul_u64 s[20:21], vcc, s[30:31]
	s_add_nc_u64 s[48:49], s[48:49], s[24:25]
	s_mul_u64 s[24:25], vcc, s[40:41]
	s_mov_b64 s[30:31], s[34:35]
	s_add_nc_u64 s[24:25], s[52:53], s[24:25]
	s_mul_u64 s[52:53], vcc, s[26:27]
	s_delay_alu instid0(SALU_CYCLE_1) | instskip(SKIP_1) | instid1(SALU_CYCLE_1)
	s_add_nc_u64 s[64:65], s[64:65], s[52:53]
	s_mul_u64 s[52:53], vcc, s[28:29]
	s_add_nc_u64 s[68:69], s[68:69], s[52:53]
	s_mul_u64 s[52:53], vcc, s[38:39]
	s_delay_alu instid0(SALU_CYCLE_1) | instskip(SKIP_4) | instid1(SALU_CYCLE_1)
	s_add_nc_u64 s[72:73], s[72:73], s[52:53]
	s_mul_u64 s[52:53], s[46:47], s[12:13]
	s_mul_u64 s[46:47], s[46:47], s[34:35]
	s_add_nc_u64 s[20:21], s[20:21], s[52:53]
	s_mul_u64 s[52:53], vcc, s[10:11]
	s_add_nc_u64 s[2:3], s[80:81], s[52:53]
	s_mul_u64 s[80:81], vcc, s[44:45]
	v_writelane_b32 v15, s2, 12
	s_add_nc_u64 s[80:81], s[84:85], s[80:81]
	s_mul_u64 s[84:85], vcc, s[74:75]
	s_mov_b64 s[52:53], s[6:7]
	s_add_nc_u64 s[84:85], s[88:89], s[84:85]
	s_mul_u64 s[88:89], vcc, s[4:5]
	v_writelane_b32 v15, s3, 13
	s_add_nc_u64 s[88:89], s[92:93], s[88:89]
	s_mul_u64 s[92:93], vcc, s[60:61]
	v_readlane_b32 s2, v18, 10
	s_add_nc_u64 s[92:93], s[94:95], s[92:93]
	s_mul_u64 s[94:95], vcc, s[66:67]
	v_readlane_b32 s3, v18, 11
	s_add_nc_u64 s[94:95], s[96:97], s[94:95]
	s_mul_u64 s[96:97], vcc, s[6:7]
	s_mov_b64 s[4:5], s[36:37]
	s_add_nc_u64 s[96:97], s[98:99], s[96:97]
	s_mul_u64 s[98:99], vcc, s[56:57]
	s_mov_b64 s[6:7], s[74:75]
	s_add_nc_u64 s[0:1], s[0:1], s[98:99]
	s_mul_u64 s[98:99], vcc, s[58:59]
	s_delay_alu instid0(SALU_CYCLE_1) | instskip(SKIP_1) | instid1(SALU_CYCLE_1)
	s_add_nc_u64 s[98:99], s[98:99], s[46:47]
	s_mul_u64 s[46:47], vcc, s[42:43]
	s_add_nc_u64 s[46:47], s[100:101], s[46:47]
	s_mul_u64 s[100:101], vcc, s[82:83]
	s_delay_alu instid0(SALU_CYCLE_1) | instskip(SKIP_1) | instid1(SALU_CYCLE_1)
	s_add_nc_u64 s[70:71], s[70:71], s[100:101]
	s_mul_u64 s[100:101], vcc, s[36:37]
	s_add_nc_u64 s[86:87], s[86:87], s[100:101]
	s_lshr_b64 s[100:101], s[102:103], 26
	s_delay_alu instid0(SALU_CYCLE_1)
	s_add_nc_u64 s[50:51], s[50:51], s[100:101]
	s_lshl_b64 s[100:101], s[2:3], 10
	v_readlane_b32 s2, v18, 10
	v_readlane_b32 s3, v18, 11
	s_add_nc_u64 s[62:63], s[62:63], s[100:101]
	s_and_b32 s100, s102, 0x3ffffff
	s_mov_b32 s101, s3
	s_mov_b64 s[2:3], s[82:83]
	s_mul_u64 s[102:103], s[100:101], s[74:75]
	s_mul_u64 s[36:37], s[100:101], s[78:79]
	s_add_nc_u64 s[102:103], s[48:49], s[102:103]
	s_mul_u64 s[48:49], s[100:101], s[14:15]
	s_mov_b64 s[74:75], s[4:5]
	s_add_nc_u64 s[24:25], s[24:25], s[48:49]
	s_mul_u64 s[48:49], s[100:101], s[40:41]
	s_delay_alu instid0(SALU_CYCLE_1) | instskip(SKIP_1) | instid1(SALU_CYCLE_1)
	s_add_nc_u64 s[64:65], s[64:65], s[48:49]
	s_mul_u64 s[48:49], s[100:101], s[26:27]
	s_add_nc_u64 s[68:69], s[68:69], s[48:49]
	s_mul_u64 s[48:49], s[100:101], s[28:29]
	s_delay_alu instid0(SALU_CYCLE_1) | instskip(SKIP_1) | instid1(SALU_CYCLE_1)
	s_add_nc_u64 s[72:73], s[72:73], s[48:49]
	s_mul_u64 s[48:49], s[100:101], s[38:39]
	s_add_nc_u64 s[20:21], s[20:21], s[48:49]
	s_mul_u64 s[48:49], vcc, s[12:13]
	s_delay_alu instid0(SALU_CYCLE_1) | instskip(SKIP_1) | instid1(SALU_CYCLE_1)
	s_add_nc_u64 s[36:37], s[36:37], s[48:49]
	s_mul_u64 s[48:49], s[100:101], s[10:11]
	s_add_nc_u64 s[48:49], s[80:81], s[48:49]
	s_mul_u64 s[80:81], s[100:101], s[44:45]
	s_delay_alu instid0(SALU_CYCLE_1)
	s_add_nc_u64 s[80:81], s[84:85], s[80:81]
	s_mul_u64 s[84:85], s[100:101], s[4:5]
	s_mov_b64 s[4:5], s[90:91]
	s_add_nc_u64 s[84:85], s[88:89], s[84:85]
	s_mul_u64 s[88:89], s[100:101], s[90:91]
	s_mov_b64 s[90:91], s[26:27]
	s_add_nc_u64 s[88:89], s[92:93], s[88:89]
	s_mul_u64 s[92:93], s[100:101], s[60:61]
	s_delay_alu instid0(SALU_CYCLE_1) | instskip(SKIP_1) | instid1(SALU_CYCLE_1)
	s_add_nc_u64 s[92:93], s[94:95], s[92:93]
	s_mul_u64 s[94:95], s[100:101], s[66:67]
	s_add_nc_u64 s[94:95], s[96:97], s[94:95]
	s_mul_u64 s[96:97], s[100:101], s[52:53]
	s_delay_alu instid0(SALU_CYCLE_1) | instskip(SKIP_1) | instid1(SALU_CYCLE_1)
	s_add_nc_u64 s[96:97], s[0:1], s[96:97]
	s_mul_u64 s[0:1], s[100:101], s[56:57]
	s_add_nc_u64 s[98:99], s[98:99], s[0:1]
	s_mul_u64 s[0:1], vcc, s[34:35]
	s_mul_u64 vcc, s[100:101], s[58:59]
	s_mov_b64 s[34:35], s[10:11]
	s_add_nc_u64 vcc, vcc, s[0:1]
	s_mul_u64 s[0:1], s[100:101], s[42:43]
	s_delay_alu instid0(SALU_CYCLE_1)
	s_add_nc_u64 s[0:1], s[70:71], s[0:1]
	s_mul_u64 s[70:71], s[100:101], s[82:83]
	v_writelane_b32 v15, s0, 14
	s_add_nc_u64 s[70:71], s[86:87], s[70:71]
	s_lshr_b64 s[86:87], s[50:51], 26
	s_and_b32 s50, s50, 0x3ffffff
	s_add_nc_u64 s[62:63], s[62:63], s[86:87]
	v_writelane_b32 v15, s1, 15
	v_readlane_b32 s0, v18, 10
	v_readlane_b32 s1, v18, 11
	s_mov_b64 s[82:83], s[40:41]
	s_mov_b32 s51, s1
	s_mov_b64 s[0:1], s[2:3]
	s_mul_u64 s[86:87], s[50:51], s[44:45]
	s_mov_b64 s[44:45], s[14:15]
	s_add_nc_u64 s[12:13], s[102:103], s[86:87]
	s_mul_u64 s[102:103], s[50:51], s[6:7]
	s_mov_b64 s[86:87], s[6:7]
	s_add_nc_u64 s[24:25], s[24:25], s[102:103]
	s_mul_u64 s[102:103], s[50:51], s[14:15]
	s_delay_alu instid0(SALU_CYCLE_1) | instskip(SKIP_4) | instid1(SALU_CYCLE_1)
	s_add_nc_u64 s[64:65], s[64:65], s[102:103]
	s_mul_u64 s[102:103], s[50:51], s[40:41]
	s_mov_b64 s[40:41], s[28:29]
	s_add_nc_u64 s[68:69], s[68:69], s[102:103]
	s_mul_u64 s[102:103], s[50:51], s[26:27]
	s_add_nc_u64 s[72:73], s[72:73], s[102:103]
	s_mul_u64 s[102:103], s[50:51], s[28:29]
	s_delay_alu instid0(SALU_CYCLE_1) | instskip(SKIP_4) | instid1(SALU_CYCLE_1)
	s_add_nc_u64 s[20:21], s[20:21], s[102:103]
	s_mul_u64 s[102:103], s[50:51], s[38:39]
	s_mul_u64 s[38:39], s[50:51], s[78:79]
	s_add_nc_u64 s[36:37], s[36:37], s[102:103]
	s_mul_u64 s[102:103], s[100:101], s[18:19]
	s_add_nc_u64 s[38:39], s[38:39], s[102:103]
	s_mul_u64 s[102:103], s[50:51], s[10:11]
	s_mov_b64 s[10:11], s[74:75]
	s_add_nc_u64 s[80:81], s[80:81], s[102:103]
	s_mul_u64 s[102:103], s[50:51], s[2:3]
	v_readlane_b32 s2, v18, 10
	s_and_b32 s2, s62, 0x3fffff
	v_readlane_b32 s3, v18, 11
	v_writelane_b32 v18, s2, 10
	s_add_nc_u64 s[84:85], s[84:85], s[102:103]
	s_mul_u64 s[102:103], s[50:51], s[74:75]
	s_lshr_b64 s[62:63], s[62:63], 22
	s_add_nc_u64 s[88:89], s[88:89], s[102:103]
	v_writelane_b32 v18, s3, 11
	s_mul_u64 s[102:103], s[50:51], s[4:5]
	s_add_nc_u64 s[54:55], s[62:63], s[54:55]
	s_add_nc_u64 s[102:103], s[92:93], s[102:103]
	s_mul_u64 s[92:93], s[50:51], s[60:61]
	v_readlane_b32 s2, v18, 10
	s_add_nc_u64 s[92:93], s[94:95], s[92:93]
	s_mul_u64 s[94:95], s[50:51], s[66:67]
	v_readlane_b32 s3, v18, 11
	;; [unrolled: 3-line block ×3, first 2 shown]
	v_readlane_b32 s7, v18, 11
	s_add_nc_u64 s[98:99], s[98:99], s[94:95]
	s_mul_u64 s[94:95], s[50:51], s[56:57]
	v_readlane_b32 s28, v18, 10
	v_readlane_b32 s29, v18, 11
	s_add_nc_u64 s[14:15], vcc, s[94:95]
	s_mul_u64 s[94:95], s[100:101], s[30:31]
	s_mul_u64 s[100:101], s[50:51], s[58:59]
	s_mul_u64 s[62:63], s[2:3], s[34:35]
	s_add_nc_u64 s[100:101], s[100:101], s[94:95]
	s_mul_u64 s[94:95], s[50:51], s[42:43]
	s_add_nc_u64 s[2:3], s[12:13], s[62:63]
	s_mul_u64 s[62:63], s[6:7], s[8:9]
	s_mov_b64 s[74:75], s[42:43]
	s_add_nc_u64 s[42:43], s[70:71], s[94:95]
	s_add_nc_u64 s[94:95], s[24:25], s[62:63]
	s_mul_u64 s[62:63], s[28:29], s[44:45]
	v_readlane_b32 s28, v18, 10
	s_add_nc_u64 s[6:7], s[68:69], s[62:63]
	v_readlane_b32 s29, v18, 11
	v_writelane_b32 v15, s6, 16
	v_readlane_b32 s24, v18, 10
	v_readlane_b32 s25, v18, 11
	s_mov_b64 s[12:13], s[18:19]
	s_mul_u64 s[62:63], s[28:29], s[82:83]
	v_writelane_b32 v15, s7, 17
	s_add_nc_u64 s[6:7], s[72:73], s[62:63]
	v_readlane_b32 s28, v18, 10
	v_writelane_b32 v16, s6, 22
	v_readlane_b32 s29, v18, 11
	s_mov_b64 s[72:73], s[0:1]
	s_mul_u64 s[24:25], s[24:25], s[86:87]
	s_mov_b64 s[68:69], s[4:5]
	v_writelane_b32 v16, s7, 23
	s_mul_u64 s[62:63], s[28:29], s[26:27]
	v_readlane_b32 s28, v18, 10
	s_add_nc_u64 s[6:7], s[20:21], s[62:63]
	v_readlane_b32 s20, v18, 10
	v_writelane_b32 v16, s6, 20
	v_readlane_b32 s21, v18, 11
	v_readlane_b32 s29, v18, 11
	s_mov_b64 s[26:27], s[22:23]
	s_add_nc_u64 vcc, s[64:65], s[24:25]
	v_writelane_b32 v16, s7, 21
	s_mul_u64 s[20:21], s[20:21], s[40:41]
	s_mov_b64 s[64:65], s[44:45]
	s_add_nc_u64 s[6:7], s[36:37], s[20:21]
	v_readlane_b32 s20, v18, 10
	v_writelane_b32 v16, s6, 18
	v_readlane_b32 s21, v18, 11
	s_mul_u64 s[36:37], s[28:29], s[78:79]
	v_readlane_b32 s28, v18, 10
	v_readlane_b32 s29, v18, 11
	v_writelane_b32 v16, s7, 19
	s_mul_u64 s[20:21], s[20:21], s[22:23]
	s_mul_u64 s[44:45], s[54:55], 0x3d1
	s_add_nc_u64 s[6:7], s[38:39], s[20:21]
	s_mul_u64 s[20:21], s[50:51], s[18:19]
	v_writelane_b32 v16, s6, 8
	s_mov_b64 s[62:63], s[52:53]
	s_mov_b64 s[18:19], s[58:59]
	;; [unrolled: 1-line block ×3, first 2 shown]
	v_writelane_b32 v16, s7, 9
	s_add_nc_u64 s[6:7], s[36:37], s[20:21]
	s_mul_u64 s[36:37], s[28:29], s[0:1]
	v_readlane_b32 s28, v18, 10
	v_readlane_b32 s29, v18, 11
	;; [unrolled: 1-line block ×4, first 2 shown]
	v_writelane_b32 v17, s6, 30
	s_add_nc_u64 s[36:37], s[88:89], s[36:37]
	s_mul_u64 s[38:39], s[28:29], s[10:11]
	v_readlane_b32 s28, v18, 10
	v_readlane_b32 s29, v18, 11
	s_add_nc_u64 s[102:103], s[102:103], s[38:39]
	s_mul_u64 s[20:21], s[20:21], s[74:75]
	v_writelane_b32 v17, s7, 31
	s_add_nc_u64 s[20:21], s[84:85], s[20:21]
	s_mul_u64 s[38:39], s[28:29], s[4:5]
	v_readlane_b32 s28, v18, 10
	s_add_nc_u64 s[0:1], s[92:93], s[38:39]
	v_readlane_b32 s29, v18, 11
	v_writelane_b32 v15, s0, 18
	s_mov_b64 s[88:89], s[10:11]
	s_mov_b64 s[92:93], s[30:31]
	s_mul_u64 s[38:39], s[28:29], s[60:61]
	v_readlane_b32 s28, v18, 10
	v_readlane_b32 s29, v18, 11
	v_writelane_b32 v15, s1, 19
	s_add_nc_u64 s[6:7], s[96:97], s[38:39]
	s_mov_b64 s[96:97], s[12:13]
	s_mul_u64 s[84:85], s[28:29], s[66:67]
	v_readlane_b32 s28, v18, 10
	v_writelane_b32 v15, s6, 20
	v_readlane_b32 s29, v18, 11
	v_writelane_b32 v15, s7, 21
	s_add_nc_u64 s[6:7], s[98:99], s[84:85]
	s_mul_u64 s[84:85], s[28:29], s[52:53]
	v_readlane_b32 s28, v18, 10
	s_add_nc_u64 s[0:1], s[14:15], s[84:85]
	v_readlane_b32 s29, v18, 11
	v_writelane_b32 v16, s0, 26
	v_writelane_b32 v15, s6, 22
	s_mov_b64 s[14:15], s[64:65]
	s_mov_b64 s[84:85], s[66:67]
	v_writelane_b32 v16, s1, 27
	v_readlane_b32 s0, v18, 10
	v_readlane_b32 s1, v18, 11
	v_writelane_b32 v15, s7, 23
	s_mov_b64 s[6:7], s[56:57]
	s_delay_alu instid0(SALU_CYCLE_1) | instskip(SKIP_1) | instid1(VALU_DEP_1)
	s_mov_b64 s[8:9], s[6:7]
	s_mul_u64 s[0:1], s[0:1], s[56:57]
	v_readlane_b32 s22, v15, 6
	s_add_nc_u64 s[0:1], s[100:101], s[0:1]
	v_readlane_b32 s23, v15, 7
	v_writelane_b32 v16, s0, 16
	v_writelane_b32 v16, s1, 17
	s_mul_u64 s[0:1], s[50:51], s[30:31]
	s_mul_u64 s[50:51], s[28:29], s[58:59]
	v_readlane_b32 s28, v18, 10
	s_add_nc_u64 s[0:1], s[50:51], s[0:1]
	v_readlane_b32 s29, v18, 11
	v_writelane_b32 v16, s0, 14
	s_lshl_b64 s[50:51], s[54:55], 6
	s_mov_b64 s[58:59], s[60:61]
	v_writelane_b32 v16, s1, 15
	v_readlane_b32 s0, v15, 4
	v_readlane_b32 s1, v15, 5
	s_mov_b32 s1, s29
	v_readlane_b32 s28, v18, 10
	v_readlane_b32 s29, v18, 11
	s_and_b32 s0, s0, 0x3ffffff
	s_delay_alu instid0(SALU_CYCLE_1)
	s_add_nc_u64 s[0:1], s[44:45], s[0:1]
	s_and_b32 s44, s22, 0x3ffffff
	s_mov_b32 s45, s29
	s_and_b32 s56, s0, 0x3ffffff
	s_add_nc_u64 s[44:45], s[50:51], s[44:45]
	s_lshr_b64 s[50:51], s[0:1], 26
	v_readlane_b32 s0, v18, 10
	v_readlane_b32 s1, v18, 11
	s_add_nc_u64 s[44:45], s[44:45], s[50:51]
	s_mov_b64 s[22:23], s[78:79]
	v_readlane_b32 s28, v18, 10
	v_readlane_b32 s29, v18, 11
	s_mov_b32 s57, s1
	s_delay_alu instid0(SALU_CYCLE_1)
	s_mul_u64 s[0:1], s[56:57], s[12:13]
	s_mul_u64 s[50:51], s[56:57], s[64:65]
	s_add_nc_u64 s[0:1], s[2:3], s[0:1]
	s_mul_u64 s[2:3], s[16:17], s[34:35]
	s_mul_u64 s[54:55], s[56:57], s[90:91]
	s_add_nc_u64 s[100:101], s[50:51], s[2:3]
	v_readlane_b32 s2, v16, 28
	v_readlane_b32 s3, v16, 29
	s_mul_u64 s[50:51], s[56:57], s[82:83]
	s_add_nc_u64 s[54:55], s[76:77], s[54:55]
	s_mul_u64 s[76:77], s[56:57], s[40:41]
	s_mul_u64 s[16:17], s[16:17], s[74:75]
	s_add_nc_u64 s[50:51], s[2:3], s[50:51]
	v_readlane_b32 s2, v15, 12
	v_readlane_b32 s3, v15, 13
	s_mov_b64 s[12:13], s[34:35]
	s_delay_alu instid0(SALU_CYCLE_1)
	s_mov_b64 s[10:11], s[12:13]
	s_add_nc_u64 s[52:53], s[2:3], s[76:77]
	s_mul_u64 s[76:77], s[56:57], s[26:27]
	v_readlane_b32 s2, v15, 8
	s_add_nc_u64 s[48:49], s[48:49], s[76:77]
	s_mul_u64 s[76:77], s[56:57], s[78:79]
	v_readlane_b32 s3, v15, 9
	s_add_nc_u64 s[76:77], s[80:81], s[76:77]
	s_mul_u64 s[80:81], s[56:57], s[30:31]
	v_writelane_b32 v14, s10, 0
	s_add_nc_u64 s[20:21], s[20:21], s[80:81]
	s_mul_u64 s[80:81], s[56:57], s[4:5]
	s_delay_alu instid0(SALU_CYCLE_1)
	s_add_nc_u64 s[16:17], s[80:81], s[16:17]
	s_mul_u64 s[80:81], s[56:57], s[60:61]
	v_writelane_b32 v14, s11, 1
	s_add_nc_u64 s[60:61], s[2:3], s[80:81]
	v_readlane_b32 s2, v15, 10
	v_readlane_b32 s3, v15, 11
	s_mul_u64 s[80:81], s[56:57], s[66:67]
	s_delay_alu instid0(SALU_CYCLE_1) | instskip(SKIP_3) | instid1(SALU_CYCLE_1)
	s_add_nc_u64 s[78:79], s[2:3], s[80:81]
	v_readlane_b32 s2, v15, 14
	v_readlane_b32 s3, v15, 15
	s_mul_u64 s[80:81], s[56:57], s[62:63]
	s_add_nc_u64 s[46:47], s[46:47], s[80:81]
	s_mul_u64 s[80:81], s[56:57], s[6:7]
	s_mov_b64 s[6:7], s[22:23]
	s_add_nc_u64 s[34:35], s[2:3], s[80:81]
	s_mul_u64 s[80:81], s[56:57], s[18:19]
	v_readlane_b32 s2, v17, 4
	s_add_nc_u64 s[4:5], s[42:43], s[80:81]
	s_mov_b32 s43, s29
	v_readlane_b32 s28, v18, 10
	v_readlane_b32 s29, v18, 11
	s_and_b32 s42, s2, 0x3ffffff
	s_lshr_b64 s[80:81], s[44:45], 26
	v_writelane_b32 v15, s6, 24
	s_add_nc_u64 s[80:81], s[80:81], s[42:43]
	s_and_b32 s42, s44, 0x3ffffff
	s_mov_b32 s43, s29
	v_readlane_b32 s3, v17, 5
	s_mul_u64 s[44:45], s[42:43], s[22:23]
	v_writelane_b32 v15, s7, 25
	s_add_nc_u64 s[0:1], s[0:1], s[44:45]
	s_mul_u64 s[44:45], s[42:43], s[96:97]
	s_mov_b64 s[2:3], s[96:97]
	s_add_nc_u64 s[24:25], s[94:95], s[44:45]
	s_mul_u64 s[44:45], s[56:57], s[70:71]
	s_mul_u64 s[96:97], s[42:43], s[12:13]
	;; [unrolled: 1-line block ×3, first 2 shown]
	s_add_nc_u64 s[96:97], s[96:97], s[44:45]
	s_mul_u64 s[44:45], s[56:57], s[86:87]
	v_writelane_b32 v15, s14, 26
	s_add_nc_u64 s[44:45], s[98:99], s[44:45]
	s_mul_u64 s[98:99], s[42:43], s[86:87]
	s_mul_u64 s[28:29], s[42:43], s[72:73]
	s_add_nc_u64 s[38:39], s[100:101], s[98:99]
	s_mul_u64 s[98:99], s[42:43], s[14:15]
	v_writelane_b32 v15, s15, 27
	s_add_nc_u64 s[50:51], s[50:51], s[98:99]
	s_mul_u64 s[98:99], s[42:43], s[82:83]
	v_writelane_b32 v16, s70, 12
	s_add_nc_u64 s[54:55], s[54:55], s[98:99]
	s_mul_u64 s[98:99], s[42:43], s[90:91]
	v_writelane_b32 v15, s26, 28
	s_add_nc_u64 s[52:53], s[52:53], s[98:99]
	s_mul_u64 s[98:99], s[42:43], s[40:41]
	v_writelane_b32 v16, s71, 13
	s_add_nc_u64 s[48:49], s[48:49], s[98:99]
	s_mul_u64 s[98:99], s[42:43], s[26:27]
	s_mov_b64 s[22:23], s[82:83]
	s_add_nc_u64 s[98:99], s[76:77], s[98:99]
	s_mul_u64 s[76:77], s[42:43], s[18:19]
	v_writelane_b32 v16, s86, 4
	s_add_nc_u64 s[100:101], s[20:21], s[76:77]
	s_mul_u64 s[20:21], s[42:43], s[30:31]
	s_mul_u64 s[76:77], s[42:43], s[74:75]
	s_add_nc_u64 s[36:37], s[36:37], s[20:21]
	s_mul_u64 s[20:21], s[56:57], s[72:73]
	s_mov_b64 s[82:83], s[2:3]
	s_add_nc_u64 s[76:77], s[76:77], s[20:21]
	s_mul_u64 s[20:21], s[56:57], s[88:89]
	v_writelane_b32 v15, s27, 29
	s_add_nc_u64 s[28:29], s[28:29], s[20:21]
	s_mul_u64 s[20:21], s[42:43], s[88:89]
	v_writelane_b32 v16, s87, 5
	;; [unrolled: 3-line block ×3, first 2 shown]
	s_add_nc_u64 s[60:61], s[60:61], s[16:17]
	s_mul_u64 s[16:17], s[42:43], s[58:59]
	s_delay_alu instid0(SALU_CYCLE_1) | instskip(SKIP_4) | instid1(SALU_CYCLE_1)
	s_add_nc_u64 s[78:79], s[78:79], s[16:17]
	s_mul_u64 s[16:17], s[42:43], s[66:67]
	v_writelane_b32 v15, s83, 31
	s_add_nc_u64 s[46:47], s[46:47], s[16:17]
	s_mul_u64 s[16:17], s[42:43], s[62:63]
	s_add_nc_u64 s[34:35], s[34:35], s[16:17]
	s_mul_u64 s[16:17], s[42:43], s[8:9]
	s_delay_alu instid0(SALU_CYCLE_1)
	s_add_nc_u64 s[42:43], s[4:5], s[16:17]
	s_mul_u64 s[4:5], s[80:81], s[26:27]
	s_mul_u64 s[26:27], s[80:81], s[88:89]
	s_add_nc_u64 s[16:17], s[0:1], s[4:5]
	s_mul_u64 s[0:1], s[80:81], s[6:7]
	s_mul_u64 s[6:7], s[80:81], s[2:3]
	s_add_nc_u64 s[0:1], s[24:25], s[0:1]
	s_add_nc_u64 s[24:25], vcc, s[6:7]
	s_mul_u64 s[6:7], s[80:81], s[10:11]
	s_add_nc_u64 s[60:61], s[60:61], s[26:27]
	s_add_nc_u64 s[4:5], s[44:45], s[6:7]
	s_mul_u64 s[6:7], s[80:81], s[70:71]
	s_delay_alu instid0(SALU_CYCLE_1) | instskip(SKIP_1) | instid1(SALU_CYCLE_1)
	s_add_nc_u64 s[2:3], s[38:39], s[6:7]
	s_mul_u64 s[6:7], s[80:81], s[86:87]
	s_add_nc_u64 s[50:51], s[50:51], s[6:7]
	s_mul_u64 s[6:7], s[80:81], s[14:15]
	s_mov_b32 s14, s16
	s_add_nc_u64 s[66:67], s[54:55], s[6:7]
	s_mul_u64 s[6:7], s[80:81], s[22:23]
	s_mul_u64 s[22:23], s[80:81], s[18:19]
	s_add_nc_u64 s[44:45], s[52:53], s[6:7]
	s_mul_u64 s[6:7], s[80:81], s[90:91]
	s_add_nc_u64 s[36:37], s[36:37], s[22:23]
	s_add_nc_u64 s[54:55], s[48:49], s[6:7]
	s_mul_u64 s[48:49], s[80:81], s[8:9]
	s_lshr_b64 s[8:9], s[16:17], 26
	s_add_nc_u64 s[48:49], s[100:101], s[48:49]
	s_add_nc_u64 s[0:1], s[0:1], s[8:9]
	s_lshr_b64 s[8:9], s[48:49], 26
	s_mul_u64 s[22:23], s[80:81], s[30:31]
	s_add_nc_u64 s[36:37], s[36:37], s[8:9]
	s_lshr_b64 s[8:9], s[0:1], 26
	s_add_nc_u64 s[52:53], s[102:103], s[22:23]
	s_mul_u64 s[100:101], s[80:81], s[62:63]
	s_add_nc_u64 s[24:25], s[24:25], s[8:9]
	s_lshr_b64 s[8:9], s[36:37], 26
	s_add_nc_u64 s[26:27], s[42:43], s[100:101]
	s_add_nc_u64 s[42:43], s[52:53], s[8:9]
	v_readlane_b32 s8, v18, 10
	v_readlane_b32 s9, v18, 11
	s_and_b32 s0, s0, 0x3ffffff
	s_mul_u64 s[22:23], s[80:81], s[72:73]
	s_mul_u64 s[72:73], s[80:81], s[58:59]
	;; [unrolled: 1-line block ×3, first 2 shown]
	s_mov_b32 s1, s9
	s_mul_u64 s[8:9], s[56:57], s[10:11]
	s_mul_u64 s[52:53], s[0:1], 0x3d10
	s_lshl_b64 s[0:1], s[0:1], 10
	s_add_nc_u64 s[8:9], s[52:53], s[8:9]
	v_readlane_b32 s52, v18, 10
	v_readlane_b32 s53, v18, 11
	s_add_nc_u64 s[0:1], s[96:97], s[0:1]
	s_lshr_b64 s[58:59], s[8:9], 26
	s_add_nc_u64 s[6:7], s[98:99], s[6:7]
	s_add_nc_u64 s[0:1], s[0:1], s[58:59]
	v_readlane_b32 s58, v18, 10
	v_readlane_b32 s59, v18, 11
	s_mul_u64 s[40:41], s[80:81], s[68:69]
	s_mul_u64 s[98:99], s[80:81], s[84:85]
	;; [unrolled: 1-line block ×3, first 2 shown]
	s_and_b32 s36, s36, 0x3ffffff
	s_mov_b32 s37, s53
	s_add_nc_u64 s[80:81], s[28:29], s[80:81]
	s_add_nc_u64 s[28:29], s[20:21], s[22:23]
	;; [unrolled: 1-line block ×3, first 2 shown]
	s_mul_u64 s[46:47], s[56:57], s[74:75]
	s_mul_u64 s[52:53], s[36:37], 0x3d10
	s_lshl_b64 s[36:37], s[36:37], 10
	s_add_nc_u64 s[96:97], s[52:53], s[46:47]
	s_lshr_b64 s[46:47], s[24:25], 26
	s_and_b32 s24, s24, 0x3ffffff
	s_mov_b32 s25, s59
	v_readlane_b32 s10, v15, 16
	s_lshl_b64 s[58:59], s[24:25], 10
	v_readlane_b32 s11, v15, 17
	s_add_nc_u64 s[36:37], s[76:77], s[36:37]
	s_add_nc_u64 s[58:59], s[4:5], s[58:59]
	s_lshr_b64 s[4:5], s[96:97], 26
	s_lshr_b64 s[56:57], s[42:43], 26
	s_add_nc_u64 s[36:37], s[36:37], s[4:5]
	v_readlane_b32 s4, v18, 10
	v_readlane_b32 s5, v18, 11
	s_add_nc_u64 s[46:47], s[10:11], s[46:47]
	v_readlane_b32 s10, v15, 18
	v_readlane_b32 s11, v15, 19
	s_and_b32 s42, s42, 0x3ffffff
	s_mov_b32 s43, s5
	s_and_b32 s38, s46, 0x3ffffff
	s_lshl_b64 s[4:5], s[42:43], 10
	s_add_nc_u64 s[56:57], s[10:11], s[56:57]
	v_readlane_b32 s10, v16, 22
	v_readlane_b32 s11, v16, 23
	s_add_nc_u64 s[68:69], s[80:81], s[4:5]
	s_mul_u64 s[4:5], s[24:25], 0x3d10
	s_add_nc_u64 s[40:41], s[78:79], s[40:41]
	s_add_nc_u64 s[4:5], s[0:1], s[4:5]
	s_lshr_b64 s[0:1], s[46:47], 26
	v_readlane_b32 s46, v18, 10
	s_add_nc_u64 s[24:25], s[10:11], s[0:1]
	s_mul_u64 s[0:1], s[42:43], 0x3d10
	v_readlane_b32 s42, v18, 10
	v_readlane_b32 s43, v18, 11
	;; [unrolled: 1-line block ×3, first 2 shown]
	s_add_nc_u64 s[0:1], s[36:37], s[0:1]
	v_readlane_b32 s10, v15, 20
	v_readlane_b32 s11, v15, 21
	s_mov_b32 s39, s43
	s_lshr_b64 s[36:37], s[56:57], 26
	s_mul_u64 s[42:43], s[38:39], 0x3d10
	s_lshl_b64 s[38:39], s[38:39], 10
	s_add_nc_u64 s[42:43], s[58:59], s[42:43]
	s_add_nc_u64 s[2:3], s[2:3], s[38:39]
	s_and_b32 s38, s56, 0x3ffffff
	s_mov_b32 s39, s47
	s_add_nc_u64 s[36:37], s[10:11], s[36:37]
	s_mul_u64 s[46:47], s[38:39], 0x3d10
	s_lshl_b64 s[38:39], s[38:39], 10
	s_add_nc_u64 s[46:47], s[68:69], s[46:47]
	s_add_nc_u64 s[28:29], s[28:29], s[38:39]
	s_lshr_b64 s[38:39], s[4:5], 26
	v_readlane_b32 s10, v16, 20
	s_add_nc_u64 s[94:95], s[42:43], s[38:39]
	s_lshr_b64 s[42:43], s[0:1], 26
	v_readlane_b32 s11, v16, 21
	s_add_nc_u64 s[30:31], s[46:47], s[42:43]
	v_readlane_b32 s46, v18, 10
	v_readlane_b32 s47, v18, 11
	s_lshr_b64 s[38:39], s[24:25], 26
	s_and_b32 s24, s24, 0x3ffffff
	s_add_nc_u64 s[38:39], s[10:11], s[38:39]
	v_readlane_b32 s10, v15, 22
	s_mov_b32 s25, s47
	v_readlane_b32 s11, v15, 23
	s_mul_u64 s[46:47], s[24:25], 0x3d10
	s_lshr_b64 s[42:43], s[36:37], 26
	s_add_nc_u64 s[2:3], s[2:3], s[46:47]
	v_readlane_b32 s46, v18, 10
	v_readlane_b32 s47, v18, 11
	s_add_nc_u64 s[42:43], s[10:11], s[42:43]
	s_and_b32 s36, s36, 0x3ffffff
	v_readlane_b32 s10, v16, 18
	v_readlane_b32 s11, v16, 19
	s_mov_b32 s37, s47
	s_lshl_b64 s[24:25], s[24:25], 10
	s_mul_u64 s[46:47], s[36:37], 0x3d10
	s_add_nc_u64 s[24:25], s[50:51], s[24:25]
	s_add_nc_u64 s[28:29], s[28:29], s[46:47]
	s_lshr_b64 s[46:47], s[38:39], 26
	s_lshr_b64 s[50:51], s[42:43], 26
	s_add_nc_u64 s[46:47], s[10:11], s[46:47]
	v_readlane_b32 s10, v16, 26
	s_and_b32 s16, s42, 0x3ffffff
	v_readlane_b32 s42, v18, 10
	v_readlane_b32 s11, v16, 27
	;; [unrolled: 1-line block ×3, first 2 shown]
	s_lshr_b64 s[56:57], s[94:95], 26
	s_lshl_b64 s[36:37], s[36:37], 10
	s_add_nc_u64 s[2:3], s[2:3], s[56:57]
	s_add_nc_u64 s[50:51], s[10:11], s[50:51]
	s_lshr_b64 s[56:57], s[30:31], 26
	s_mov_b32 s17, s43
	v_readlane_b32 s10, v16, 8
	v_readlane_b32 s11, v16, 9
	s_add_nc_u64 s[28:29], s[28:29], s[56:57]
	v_readlane_b32 s56, v18, 10
	s_mul_u64 s[42:43], s[16:17], 0x3d10
	s_lshl_b64 s[16:17], s[16:17], 10
	v_readlane_b32 s57, v18, 11
	s_add_nc_u64 s[36:37], s[60:61], s[36:37]
	s_add_nc_u64 s[40:41], s[40:41], s[16:17]
	s_lshr_b64 s[16:17], s[46:47], 26
	s_add_nc_u64 s[36:37], s[36:37], s[42:43]
	s_add_nc_u64 s[42:43], s[10:11], s[16:17]
	v_readlane_b32 s10, v16, 16
	v_readlane_b32 s11, v16, 17
	s_and_b32 s38, s38, 0x3ffffff
	s_mov_b32 s39, s57
	s_lshr_b64 s[16:17], s[50:51], 26
	s_mul_u64 s[56:57], s[38:39], 0x3d10
	s_lshl_b64 s[38:39], s[38:39], 10
	s_add_nc_u64 s[24:25], s[24:25], s[56:57]
	s_add_nc_u64 s[56:57], s[10:11], s[16:17]
	s_lshr_b64 s[16:17], s[2:3], 26
	s_add_nc_u64 s[38:39], s[66:67], s[38:39]
	s_add_nc_u64 s[16:17], s[24:25], s[16:17]
	s_lshr_b64 s[24:25], s[28:29], 26
	v_readlane_b32 s10, v17, 30
	s_add_nc_u64 s[24:25], s[36:37], s[24:25]
	s_and_b32 s36, s46, 0x3ffffff
	v_readlane_b32 s46, v18, 10
	v_readlane_b32 s47, v18, 11
	;; [unrolled: 1-line block ×3, first 2 shown]
	s_mov_b32 s29, s24
	s_lshr_b64 s[24:25], s[24:25], 26
	s_add_nc_u64 s[22:23], s[34:35], s[98:99]
	s_mov_b32 s37, s47
	s_mov_b32 s3, s16
	s_mul_u64 s[46:47], s[36:37], 0x3d10
	s_lshl_b64 s[36:37], s[36:37], 10
	s_add_nc_u64 s[38:39], s[38:39], s[46:47]
	v_readlane_b32 s46, v18, 10
	v_readlane_b32 s47, v18, 11
	s_add_nc_u64 s[36:37], s[44:45], s[36:37]
	s_and_b32 s44, s50, 0x3ffffff
	s_and_b64 s[12:13], s[28:29], 0x3ffffff03ffffff
	s_and_b64 s[28:29], s[2:3], 0x3ffffff03ffffff
	s_mov_b32 s45, s47
	s_lshl_b32 s1, s13, 1
	s_mul_u64 s[46:47], s[44:45], 0x3d10
	s_lshl_b64 s[44:45], s[44:45], 10
	s_add_nc_u64 s[40:41], s[40:41], s[46:47]
	s_add_nc_u64 s[20:21], s[20:21], s[44:45]
	s_lshr_b64 s[44:45], s[42:43], 26
	s_add_nc_u64 s[40:41], s[40:41], s[24:25]
	s_add_nc_u64 s[46:47], s[10:11], s[44:45]
	v_readlane_b32 s10, v16, 14
	v_readlane_b32 s11, v16, 15
	s_lshr_b64 s[44:45], s[56:57], 26
	s_and_b32 s24, s42, 0x3ffffff
	v_readlane_b32 s42, v18, 10
	v_readlane_b32 s43, v18, 11
	s_add_nc_u64 s[50:51], s[10:11], s[44:45]
	s_lshr_b64 s[44:45], s[16:17], 26
	s_lshl_b32 s3, s12, 1
	s_add_nc_u64 s[44:45], s[38:39], s[44:45]
	v_readlane_b32 s38, v18, 10
	v_readlane_b32 s39, v18, 11
	s_add_co_i32 s1, s1, s29
	s_add_co_i32 s3, s3, s28
	s_lshr_b64 s[28:29], s[44:45], 26
	v_readlane_b32 s10, v19, 8
	s_mov_b32 s25, s39
	v_readlane_b32 s11, v19, 9
	s_mul_u64 s[38:39], s[24:25], 0x3d10
	s_lshl_b64 s[24:25], s[24:25], 10
	s_add_nc_u64 s[36:37], s[36:37], s[38:39]
	s_add_nc_u64 s[38:39], s[54:55], s[24:25]
	s_and_b32 s24, s56, 0x3ffffff
	s_mov_b32 s25, s43
	s_add_nc_u64 s[58:59], s[36:37], s[28:29]
	s_mul_u64 s[42:43], s[24:25], 0x3d10
	s_lshl_b64 s[24:25], s[24:25], 10
	s_add_nc_u64 s[20:21], s[20:21], s[42:43]
	s_add_nc_u64 s[54:55], s[22:23], s[24:25]
	v_readlane_b32 s22, v18, 10
	v_readlane_b32 s23, v18, 11
	s_lshr_b64 s[28:29], s[40:41], 26
	s_lshr_b64 s[24:25], s[46:47], 26
	s_add_nc_u64 s[88:89], s[20:21], s[28:29]
	v_readlane_b32 s28, v18, 10
	s_mul_u64 s[22:23], s[22:23], s[82:83]
	v_readlane_b32 s29, v18, 11
	s_add_nc_u64 s[24:25], s[24:25], s[22:23]
	v_readlane_b32 s22, v18, 10
	v_readlane_b32 s23, v18, 11
	s_and_b32 s20, s46, 0x3ffffff
	s_mov_b32 s21, s29
	s_lshr_b64 s[42:43], s[50:51], 26
	s_mul_u64 s[28:29], s[20:21], 0x3d10
	s_mul_u64 s[22:23], s[22:23], s[92:93]
	s_lshl_b64 s[20:21], s[20:21], 10
	s_add_nc_u64 s[22:23], s[42:43], s[22:23]
	s_add_nc_u64 s[42:43], s[6:7], s[20:21]
	v_readlane_b32 s20, v18, 10
	v_readlane_b32 s21, v18, 11
	s_and_b32 s6, s50, 0x3ffffff
	s_add_nc_u64 s[80:81], s[38:39], s[28:29]
	s_and_b32 s16, s16, 0x3ffffff
	v_readlane_b32 s36, v18, 10
	s_mov_b32 s7, s21
	v_readlane_b32 s37, v18, 11
	s_mul_u64 s[20:21], s[6:7], 0x3d10
	s_lshl_b64 s[6:7], s[6:7], 10
	s_add_nc_u64 s[92:93], s[54:55], s[20:21]
	s_add_nc_u64 s[38:39], s[26:27], s[6:7]
	v_readlane_b32 s6, v17, 8
	v_readlane_b32 s7, v17, 9
	s_and_b32 s36, s24, 0x3ffffff
	s_and_b32 s20, s14, 0x3ffffff
	;; [unrolled: 1-line block ×3, first 2 shown]
	v_readlane_b32 s98, v19, 22
	s_and_b64 s[6:7], s[6:7], 0x3ffffff03ffffff
	v_readlane_b32 s99, v19, 23
	s_sub_co_i32 s3, s6, s3
	s_sub_co_i32 s5, s7, s1
	v_writelane_b32 v16, s3, 8
	v_readlane_b32 s6, v18, 10
	v_readlane_b32 s7, v18, 11
	s_sub_co_i32 s1, s12, s3
	s_sub_co_i32 s3, s13, s5
	v_writelane_b32 v16, s5, 14
	s_add_co_i32 s76, s1, 0xffffffc
	s_add_co_i32 s78, s3, 0xffffffc
	s_and_b32 s9, s40, 0x3ffffff
	s_and_b32 s4, s4, 0x3ffffff
	v_readlane_b32 s64, v16, 6
	v_readlane_b32 s65, v16, 7
	s_mov_b32 s65, s7
	v_readlane_b32 s6, v18, 10
	v_readlane_b32 s7, v18, 11
	;; [unrolled: 1-line block ×4, first 2 shown]
	s_mov_b64 s[14:15], s[64:65]
	s_and_b32 s0, s0, 0x3ffffff
	s_mov_b32 s11, s7
	v_readlane_b32 s6, v18, 10
	v_readlane_b32 s7, v18, 11
	s_mov_b32 s17, s7
	v_readlane_b32 s6, v18, 10
	v_readlane_b32 s7, v18, 11
	s_mov_b64 s[18:19], s[16:17]
	s_and_b32 s16, s44, 0x3ffffff
	s_mov_b64 s[44:45], s[10:11]
	v_writelane_b32 v17, s18, 4
	s_mov_b32 s17, s7
	s_mul_u64 s[6:7], s[18:19], s[64:65]
	s_mov_b64 s[10:11], s[16:17]
	s_mul_u64 s[16:17], s[16:17], s[44:45]
	v_writelane_b32 v17, s19, 5
	s_add_nc_u64 s[6:7], s[16:17], s[6:7]
	s_lshr_b64 s[16:17], s[58:59], 26
	s_mov_b64 s[70:71], s[10:11]
	s_add_nc_u64 s[26:27], s[80:81], s[16:17]
	s_lshr_b64 s[16:17], s[88:89], 26
	v_writelane_b32 v17, s70, 8
	s_add_nc_u64 s[28:29], s[92:93], s[16:17]
	s_mul_u64 s[16:17], s[36:37], 0x3d10
	s_lshl_b64 s[36:37], s[36:37], 10
	s_add_nc_u64 s[42:43], s[42:43], s[16:17]
	v_readlane_b32 s16, v18, 10
	v_readlane_b32 s17, v18, 11
	s_mov_b32 s89, s28
	s_lshr_b64 s[28:29], s[28:29], 26
	v_writelane_b32 v17, s71, 9
	s_mov_b32 s59, s26
	s_mov_b32 s21, s17
	s_lshr_b64 s[16:17], s[24:25], 26
	s_and_b32 s80, s26, 0x3ffffff
	s_mul_u64 s[24:25], s[16:17], 0x3d10
	v_readlane_b32 s90, v17, 28
	s_add_nc_u64 s[24:25], s[24:25], s[20:21]
	v_readlane_b32 s20, v18, 10
	s_and_b32 s20, s22, 0x3ffffff
	v_readlane_b32 s21, v18, 11
	v_writelane_b32 v18, s20, 10
	s_add_nc_u64 s[24:25], s[24:25], s[36:37]
	v_readlane_b32 s91, v17, 29
	v_readlane_b32 s18, v17, 26
	;; [unrolled: 1-line block ×3, first 2 shown]
	v_writelane_b32 v18, s21, 11
	s_lshl_b64 s[16:17], s[16:17], 14
	s_delay_alu instid0(VALU_DEP_1)
	v_readlane_b32 s20, v18, 10
	v_readlane_b32 s21, v18, 11
	v_readlane_b32 s36, v18, 10
	v_readlane_b32 s37, v18, 11
	v_readlane_b32 s82, v18, 10
	v_readlane_b32 s83, v18, 11
	s_mul_u64 s[20:21], s[20:21], 0x3d10
	v_readlane_b32 s52, v18, 22
	s_add_nc_u64 s[38:39], s[38:39], s[20:21]
	v_readlane_b32 s20, v18, 10
	v_readlane_b32 s21, v18, 11
	s_lshl_b64 s[36:37], s[36:37], 10
	v_readlane_b32 s56, v18, 18
	v_readlane_b32 s53, v18, 23
	;; [unrolled: 1-line block ×3, first 2 shown]
	s_mov_b32 s47, s21
	s_lshr_b64 s[20:21], s[22:23], 26
	s_and_b32 s82, s58, 0x3ffffff
	s_mul_u64 s[22:23], s[20:21], 0x3d10
	v_readlane_b32 s62, v18, 20
	s_add_nc_u64 s[22:23], s[22:23], s[46:47]
	v_readlane_b32 s46, v18, 10
	s_add_nc_u64 s[22:23], s[22:23], s[36:37]
	s_lshr_b64 s[36:37], s[26:27], 26
	v_readlane_b32 s47, v18, 11
	s_add_nc_u64 s[36:37], s[42:43], s[36:37]
	s_add_nc_u64 s[42:43], s[38:39], s[28:29]
	v_readlane_b32 s28, v18, 10
	v_readlane_b32 s29, v18, 11
	s_mov_b32 s99, s47
	v_readlane_b32 s63, v18, 21
	s_mul_u64 s[46:47], s[82:83], s[98:99]
	v_readlane_b32 s74, v18, 24
	s_mov_b32 s77, s29
	v_readlane_b32 s28, v18, 10
	v_readlane_b32 s29, v18, 11
	v_readlane_b32 s75, v18, 25
	s_add_nc_u64 s[6:7], s[6:7], s[46:47]
	s_mul_u64 s[46:47], s[10:11], s[64:65]
	s_mul_u64 s[48:49], s[82:83], s[44:45]
	s_mov_b32 s79, s29
	s_mul_u64 s[28:29], s[76:77], s[52:53]
	s_mul_u64 s[38:39], s[78:79], s[56:57]
	v_readlane_b32 s102, v18, 26
	v_readlane_b32 s103, v18, 27
	s_add_nc_u64 s[46:47], s[48:49], s[46:47]
	s_add_nc_u64 s[28:29], s[38:39], s[28:29]
	s_mul_u64 s[38:39], s[76:77], s[62:63]
	s_mul_u64 s[48:49], s[78:79], s[52:53]
	v_readlane_b32 s10, v17, 20
	v_readlane_b32 s11, v17, 21
	s_add_nc_u64 s[38:39], s[48:49], s[38:39]
	s_mul_u64 s[48:49], s[76:77], s[74:75]
	s_mul_u64 s[50:51], s[78:79], s[62:63]
	;; [unrolled: 1-line block ×3, first 2 shown]
	s_add_nc_u64 s[50:51], s[50:51], s[48:49]
	s_mul_u64 s[48:49], s[76:77], s[102:103]
	v_readlane_b32 s26, v18, 10
	s_add_nc_u64 s[68:69], s[54:55], s[48:49]
	s_mul_u64 s[48:49], s[76:77], s[60:61]
	s_mul_u64 s[54:55], s[78:79], s[10:11]
	v_readlane_b32 s27, v18, 11
	s_add_nc_u64 s[12:13], s[54:55], s[48:49]
	s_mul_u64 s[48:49], s[76:77], s[90:91]
	v_writelane_b32 v15, s12, 18
	s_mul_u64 s[54:55], s[78:79], s[60:61]
	s_mov_b32 s81, s27
	s_add_nc_u64 s[84:85], s[54:55], s[48:49]
	s_mul_u64 s[48:49], s[76:77], s[18:19]
	s_mul_u64 s[54:55], s[78:79], s[90:91]
	v_writelane_b32 v15, s13, 19
	v_readlane_b32 s12, v19, 24
	s_add_nc_u64 s[86:87], s[54:55], s[48:49]
	v_readlane_b32 s48, v18, 10
	v_readlane_b32 s49, v18, 11
	;; [unrolled: 1-line block ×3, first 2 shown]
	s_mov_b32 s48, s12
	s_mov_b64 s[12:13], s[44:45]
	s_and_b32 s92, s36, 0x3ffffff
	s_mul_u64 s[26:27], s[80:81], s[48:49]
	s_mov_b64 s[34:35], s[48:49]
	s_add_nc_u64 s[6:7], s[6:7], s[26:27]
	s_mul_u64 s[26:27], s[80:81], s[98:99]
	s_mul_u64 s[48:49], s[80:81], s[44:45]
	s_add_nc_u64 s[26:27], s[46:47], s[26:27]
	s_mul_u64 s[46:47], s[82:83], s[64:65]
	s_and_b64 s[64:65], s[88:89], 0x3ffffff03ffffff
	s_add_nc_u64 s[46:47], s[48:49], s[46:47]
	s_lshr_b64 s[48:49], s[36:37], 26
	s_lshl_b32 s1, s65, 1
	s_add_nc_u64 s[24:25], s[24:25], s[48:49]
	s_lshr_b64 s[48:49], s[42:43], 26
	s_lshl_b32 s3, s64, 1
	s_add_nc_u64 s[66:67], s[22:23], s[48:49]
	s_and_b64 s[22:23], s[58:59], 0x3ffffff03ffffff
	v_writelane_b32 v16, s66, 18
	s_add_co_i32 s1, s1, s23
	s_add_co_i32 s3, s3, s22
	s_mov_b64 vcc, s[74:75]
	v_writelane_b32 v16, s67, 19
	s_delay_alu instid0(VALU_DEP_1) | instskip(SKIP_3) | instid1(SALU_CYCLE_1)
	v_readlane_b32 s22, v16, 30
	v_readlane_b32 s23, v16, 31
	s_and_b32 s5, s22, 0x3ffffff
	s_lshl_b32 s22, s9, 1
	s_add_co_i32 s22, s22, s70
	s_delay_alu instid0(SALU_CYCLE_1) | instskip(SKIP_4) | instid1(SALU_CYCLE_1)
	s_sub_co_i32 s5, s5, s22
	v_readlane_b32 s22, v18, 10
	v_writelane_b32 v17, s5, 30
	v_readlane_b32 s23, v18, 11
	s_sub_co_i32 s5, s9, s5
	s_add_co_i32 s88, s5, 0xffffffc
	v_readlane_b32 s100, v17, 24
	v_readlane_b32 s101, v17, 25
	s_mov_b32 s89, s23
	v_readlane_b32 s44, v17, 22
	v_readlane_b32 s45, v17, 23
	s_mul_u64 s[22:23], s[88:89], s[100:101]
	s_delay_alu instid0(SALU_CYCLE_1)
	s_add_nc_u64 s[48:49], s[28:29], s[22:23]
	s_mul_u64 s[22:23], s[88:89], s[56:57]
	s_mul_u64 s[28:29], s[88:89], s[74:75]
	s_add_nc_u64 s[54:55], s[38:39], s[22:23]
	s_mul_u64 s[22:23], s[88:89], s[52:53]
	v_readlane_b32 s74, v17, 14
	s_add_nc_u64 s[58:59], s[50:51], s[22:23]
	s_mul_u64 s[22:23], s[88:89], s[62:63]
	v_readlane_b32 s75, v17, 15
	s_add_nc_u64 s[50:51], s[68:69], s[22:23]
	s_mul_u64 s[22:23], s[78:79], s[102:103]
	s_mov_b64 s[68:69], s[10:11]
	s_add_nc_u64 s[72:73], s[28:29], s[22:23]
	s_mul_u64 s[22:23], s[88:89], s[10:11]
	v_readlane_b32 s10, v15, 0
	v_readlane_b32 s11, v15, 1
	s_add_nc_u64 s[38:39], s[84:85], s[22:23]
	s_mul_u64 s[22:23], s[88:89], s[60:61]
	s_mul_u64 s[28:29], s[80:81], s[14:15]
	s_add_nc_u64 s[40:41], s[86:87], s[22:23]
	s_and_b64 s[22:23], s[10:11], 0x3ffffff03ffffff
	s_mov_b64 s[84:85], s[12:13]
	s_sub_co_i32 s3, s22, s3
	s_sub_co_i32 s31, s23, s1
	v_readlane_b32 s22, v18, 10
	v_readlane_b32 s23, v18, 11
	v_writelane_b32 v16, s3, 6
	s_sub_co_i32 s3, s64, s3
	s_mov_b64 s[86:87], s[98:99]
	s_mov_b32 s45, s23
	v_readlane_b32 s22, v18, 10
	v_readlane_b32 s23, v18, 11
	v_writelane_b32 v16, s31, 16
	s_mov_b32 s93, s23
	s_delay_alu instid0(SALU_CYCLE_1)
	s_mul_u64 s[22:23], s[92:93], s[44:45]
	s_mul_u64 s[36:37], s[92:93], s[12:13]
	s_add_nc_u64 s[6:7], s[6:7], s[22:23]
	s_mul_u64 s[22:23], s[92:93], s[34:35]
	s_add_nc_u64 s[28:29], s[36:37], s[28:29]
	s_lshr_b64 s[36:37], s[24:25], 22
	s_add_nc_u64 s[22:23], s[26:27], s[22:23]
	s_mul_u64 s[26:27], s[92:93], s[98:99]
	s_add_nc_u64 s[36:37], s[36:37], s[16:17]
	s_lshl_b64 s[16:17], s[20:21], 14
	s_lshr_b64 s[20:21], s[66:67], 22
	s_add_nc_u64 s[26:27], s[46:47], s[26:27]
	s_add_nc_u64 s[46:47], s[20:21], s[16:17]
	v_readlane_b32 s16, v18, 10
	v_readlane_b32 s17, v18, 11
	s_and_b32 s20, s24, 0x3fffff
	s_mov_b64 s[24:25], s[100:101]
	s_mov_b32 s75, s17
	v_readlane_b32 s16, v18, 10
	v_readlane_b32 s17, v18, 11
	s_mov_b32 s21, s17
	s_delay_alu instid0(SALU_CYCLE_1) | instskip(NEXT) | instid1(SALU_CYCLE_1)
	s_mul_u64 s[16:17], s[20:21], s[74:75]
	s_add_nc_u64 s[6:7], s[6:7], s[16:17]
	s_mov_b64 s[16:17], s[60:61]
	v_writelane_b32 v16, s6, 20
	v_writelane_b32 v16, s7, 21
	s_mul_u64 s[6:7], s[20:21], s[44:45]
	s_delay_alu instid0(SALU_CYCLE_1) | instskip(SKIP_4) | instid1(SALU_CYCLE_1)
	s_add_nc_u64 s[6:7], s[22:23], s[6:7]
	s_mov_b64 s[22:23], s[34:35]
	v_writelane_b32 v17, s6, 14
	v_writelane_b32 v17, s7, 15
	s_mul_u64 s[6:7], s[20:21], s[34:35]
	s_add_nc_u64 s[6:7], s[26:27], s[6:7]
	s_mov_b64 s[26:27], s[14:15]
	v_writelane_b32 v14, s6, 2
	v_readlane_b32 s70, v17, 18
	v_readlane_b32 s71, v17, 19
	;; [unrolled: 1-line block ×4, first 2 shown]
	v_writelane_b32 v14, s7, 3
	s_mul_u64 s[6:7], s[20:21], s[98:99]
	s_delay_alu instid0(SALU_CYCLE_1)
	s_add_nc_u64 s[6:7], s[28:29], s[6:7]
	s_mul_u64 s[28:29], s[20:21], s[12:13]
	v_writelane_b32 v16, s6, 28
	v_writelane_b32 v16, s7, 29
	s_mul_u64 s[6:7], s[92:93], s[14:15]
	s_mov_b64 s[14:15], s[56:57]
	s_add_nc_u64 s[6:7], s[28:29], s[6:7]
	v_readlane_b32 s28, v18, 10
	v_writelane_b32 v16, s6, 22
	v_readlane_b32 s29, v18, 11
	v_writelane_b32 v16, s7, 23
	s_and_b32 s6, s8, 0x3ffffff
	v_readlane_b32 s8, v18, 10
	v_readlane_b32 s9, v18, 11
	s_mov_b32 s7, s9
	s_mul_u64 s[8:9], s[36:37], 0x3d1
	s_delay_alu instid0(SALU_CYCLE_1) | instskip(SKIP_4) | instid1(SALU_CYCLE_1)
	s_add_nc_u64 s[6:7], s[8:9], s[6:7]
	v_readlane_b32 s8, v18, 10
	v_readlane_b32 s9, v18, 11
	s_mov_b32 s5, s9
	s_lshl_b64 s[8:9], s[36:37], 6
	s_add_nc_u64 s[4:5], s[8:9], s[4:5]
	s_and_b32 s8, s96, 0x3ffffff
	s_mov_b32 s9, s29
	s_mul_u64 s[28:29], s[46:47], 0x3d1
	s_add_co_i32 s96, s3, 0xffffffc
	s_add_nc_u64 s[8:9], s[28:29], s[8:9]
	v_readlane_b32 s28, v18, 10
	v_readlane_b32 s29, v18, 11
	s_sub_co_i32 s3, s65, s31
	s_mov_b64 s[64:65], vcc
	s_mov_b32 s1, s29
	s_lshl_b64 s[28:29], s[46:47], 6
	s_delay_alu instid0(SALU_CYCLE_1) | instskip(SKIP_3) | instid1(SALU_CYCLE_1)
	s_add_nc_u64 s[0:1], s[28:29], s[0:1]
	v_readlane_b32 s28, v18, 10
	v_readlane_b32 s29, v18, 11
	s_mov_b32 s97, s29
	s_mul_u64 s[28:29], s[96:97], s[18:19]
	s_mul_u64 s[36:37], s[96:97], s[100:101]
	s_add_nc_u64 s[28:29], s[48:49], s[28:29]
	s_add_nc_u64 s[36:37], s[54:55], s[36:37]
	s_mul_u64 s[46:47], s[96:97], s[56:57]
	s_mov_b64 s[56:57], s[52:53]
	s_mul_u64 s[48:49], s[96:97], s[52:53]
	s_mul_u64 s[52:53], s[88:89], s[102:103]
	s_mul_u64 s[54:55], s[96:97], vcc
	s_add_co_i32 s100, s3, 0xffffffc
	s_add_nc_u64 s[52:53], s[54:55], s[52:53]
	v_readlane_b32 s54, v18, 10
	v_readlane_b32 s55, v18, 11
	s_add_nc_u64 s[46:47], s[58:59], s[46:47]
	s_add_nc_u64 s[48:49], s[50:51], s[48:49]
	s_mul_u64 s[50:51], s[96:97], s[62:63]
	s_and_b32 s3, s30, 0x3ffffff
	s_mov_b32 s101, s55
	s_mul_u64 s[54:55], s[96:97], s[102:103]
	s_mul_u64 s[58:59], s[100:101], vcc
	s_add_nc_u64 s[50:51], s[72:73], s[50:51]
	s_add_nc_u64 s[10:11], s[58:59], s[54:55]
	s_mul_u64 s[54:55], s[96:97], s[68:69]
	v_writelane_b32 v16, s10, 26
	s_add_nc_u64 s[40:41], s[40:41], s[54:55]
	s_lshr_b64 s[54:55], s[6:7], 26
	s_mov_b64 s[72:73], s[102:103]
	s_add_nc_u64 s[4:5], s[4:5], s[54:55]
	s_lshr_b64 s[54:55], s[8:9], 26
	v_writelane_b32 v16, s11, 27
	s_add_nc_u64 s[0:1], s[0:1], s[54:55]
	s_mul_u64 s[54:55], s[100:101], s[90:91]
	s_and_b32 s58, s4, 0x3ffffff
	s_add_nc_u64 s[10:11], s[28:29], s[54:55]
	s_mul_u64 s[28:29], s[100:101], s[18:19]
	v_writelane_b32 v15, s10, 6
	v_writelane_b32 v15, s11, 7
	s_add_nc_u64 s[10:11], s[36:37], s[28:29]
	s_mul_u64 s[28:29], s[100:101], s[24:25]
	v_readlane_b32 s36, v18, 10
	v_readlane_b32 s37, v18, 11
	v_writelane_b32 v15, s10, 22
	v_writelane_b32 v15, s11, 23
	s_add_nc_u64 s[10:11], s[46:47], s[28:29]
	s_mul_u64 s[28:29], s[100:101], s[14:15]
	v_writelane_b32 v15, s10, 8
	v_writelane_b32 v15, s11, 9
	s_add_nc_u64 s[10:11], s[48:49], s[28:29]
	s_mul_u64 s[28:29], s[100:101], s[56:57]
	s_mov_b64 s[48:49], s[56:57]
	v_readlane_b32 s56, v17, 10
	v_writelane_b32 v15, s10, 20
	v_readlane_b32 s57, v17, 11
	v_writelane_b32 v15, s11, 21
	s_add_nc_u64 s[10:11], s[50:51], s[28:29]
	s_mul_u64 s[28:29], s[100:101], s[62:63]
	v_writelane_b32 v15, s10, 10
	v_writelane_b32 v15, s11, 11
	s_add_nc_u64 s[10:11], s[52:53], s[28:29]
	s_mov_b32 s29, s37
	s_lshr_b64 s[36:37], s[4:5], 26
	v_readlane_b32 s4, v18, 10
	v_readlane_b32 s5, v18, 11
	s_and_b32 s28, s94, 0x3ffffff
	s_and_b32 s94, s6, 0x3ffffff
	v_readlane_b32 s6, v18, 10
	v_readlane_b32 s7, v18, 11
	s_mov_b32 s59, s5
	v_readlane_b32 s4, v18, 10
	v_readlane_b32 s5, v18, 11
	v_writelane_b32 v15, s10, 16
	s_mov_b32 s95, s7
	s_add_nc_u64 vcc, s[36:37], s[28:29]
	s_lshr_b64 s[28:29], s[0:1], 26
	s_mov_b32 s71, s5
	v_readlane_b32 s4, v18, 10
	v_readlane_b32 s5, v18, 11
	v_writelane_b32 v15, s11, 17
	s_add_co_i32 s43, s28, s3
	s_and_b32 s3, s8, 0x3ffffff
	s_and_b32 s0, s0, 0x3ffffff
	s_mov_b32 s67, s5
	s_mul_u64 s[4:5], s[94:95], s[70:71]
	s_mul_u64 s[6:7], s[58:59], s[66:67]
	s_mov_b64 s[10:11], s[84:85]
	s_add_nc_u64 s[102:103], s[6:7], s[4:5]
	v_readlane_b32 s4, v18, 10
	v_readlane_b32 s5, v18, 11
	s_mul_u64 s[6:7], s[58:59], s[70:71]
	s_mov_b32 s57, s5
	s_delay_alu instid0(SALU_CYCLE_1) | instskip(NEXT) | instid1(SALU_CYCLE_1)
	s_mul_u64 s[4:5], s[94:95], s[56:57]
	s_add_nc_u64 s[4:5], s[6:7], s[4:5]
	s_mul_u64 s[6:7], vcc, s[66:67]
	s_delay_alu instid0(SALU_CYCLE_1) | instskip(SKIP_4) | instid1(SALU_CYCLE_1)
	s_add_nc_u64 s[52:53], s[4:5], s[6:7]
	v_readlane_b32 s4, v15, 2
	v_readlane_b32 s5, v15, 3
	s_and_b32 s1, s4, 0x3ffffff
	s_lshl_b32 s4, s3, 1
	s_add_co_i32 s4, s4, s94
	s_delay_alu instid0(SALU_CYCLE_1)
	s_sub_co_i32 s1, s1, s4
	v_readlane_b32 s4, v18, 10
	v_writelane_b32 v17, s1, 16
	s_sub_co_i32 s1, s3, s1
	v_readlane_b32 s5, v18, 11
	s_add_co_i32 s4, s1, 0xffff0bc
	s_delay_alu instid0(SALU_CYCLE_1) | instskip(SKIP_3) | instid1(VALU_DEP_1)
	v_writelane_b32 v18, s4, 10
	v_readlane_b32 s30, v17, 12
	v_readlane_b32 s31, v17, 13
	v_writelane_b32 v18, s5, 11
	v_readlane_b32 s4, v18, 10
	v_readlane_b32 s5, v18, 11
	;; [unrolled: 1-line block ×6, first 2 shown]
	s_mul_u64 s[4:5], s[4:5], s[72:73]
	v_readlane_b32 s6, v18, 10
	v_writelane_b32 v15, s4, 12
	s_mul_u64 s[46:47], s[46:47], s[48:49]
	v_readlane_b32 s48, v18, 10
	v_readlane_b32 s49, v18, 11
	;; [unrolled: 1-line block ×3, first 2 shown]
	v_writelane_b32 v15, s5, 13
	v_readlane_b32 s4, v18, 10
	v_readlane_b32 s5, v18, 11
	s_mul_u64 s[12:13], s[48:49], s[62:63]
	v_readlane_b32 s48, v18, 10
	v_readlane_b32 s49, v18, 11
	;; [unrolled: 1-line block ×3, first 2 shown]
	s_mul_u64 s[4:5], s[4:5], s[68:69]
	v_readlane_b32 s7, v18, 11
	v_writelane_b32 v15, s4, 4
	v_readlane_b32 s29, v18, 11
	v_readlane_b32 s37, v18, 11
	s_mul_u64 s[8:9], s[8:9], s[18:19]
	v_readlane_b32 s62, v17, 4
	v_writelane_b32 v15, s5, 5
	v_readlane_b32 s4, v18, 10
	v_readlane_b32 s5, v18, 11
	s_mul_u64 s[28:29], s[28:29], s[24:25]
	s_mul_u64 s[36:37], s[36:37], s[14:15]
	v_writelane_b32 v15, s12, 0
	v_readlane_b32 s63, v17, 5
	s_mul_u64 s[4:5], s[4:5], s[60:61]
	s_mov_b64 s[72:73], s[68:69]
	s_mul_u64 s[6:7], s[6:7], s[90:91]
	v_writelane_b32 v15, s13, 1
	s_mul_u64 s[12:13], s[48:49], s[64:65]
	v_readlane_b32 s48, v18, 10
	s_and_b32 s48, s2, 0x3ffffff
	v_readlane_b32 s49, v18, 11
	v_writelane_b32 v18, s48, 10
	s_mul_u64 s[2:3], s[76:77], s[68:69]
	v_writelane_b32 v16, s12, 30
	s_add_nc_u64 s[2:3], s[8:9], s[2:3]
	v_readlane_b32 s8, v15, 18
	v_writelane_b32 v18, s49, 11
	v_readlane_b32 s9, v15, 19
	v_writelane_b32 v16, s13, 31
	s_delay_alu instid0(VALU_DEP_3)
	v_readlane_b32 s48, v18, 10
	s_add_nc_u64 s[8:9], s[8:9], s[28:29]
	s_add_nc_u64 s[28:29], s[38:39], s[36:37]
	;; [unrolled: 1-line block ×3, first 2 shown]
	v_readlane_b32 s40, v18, 10
	v_readlane_b32 s41, v18, 11
	;; [unrolled: 1-line block ×5, first 2 shown]
	s_mul_u64 s[38:39], s[62:63], s[44:45]
	s_mul_u64 s[40:41], s[40:41], s[34:35]
	v_readlane_b32 s50, v18, 10
	v_readlane_b32 s51, v18, 11
	s_add_nc_u64 s[40:41], s[38:39], s[40:41]
	s_mul_u64 s[38:39], s[62:63], s[34:35]
	s_mul_u64 s[46:47], s[46:47], s[98:99]
	;; [unrolled: 1-line block ×3, first 2 shown]
	s_add_nc_u64 s[46:47], s[38:39], s[46:47]
	s_mul_u64 s[38:39], s[62:63], s[98:99]
	s_mul_u64 s[50:51], s[50:51], s[26:27]
	s_add_nc_u64 s[48:49], s[38:39], s[48:49]
	s_mul_u64 s[38:39], s[62:63], s[84:85]
	v_readlane_b32 s54, v18, 10
	s_add_nc_u64 s[50:51], s[38:39], s[50:51]
	v_readlane_b32 s38, v18, 10
	v_readlane_b32 s39, v18, 11
	;; [unrolled: 1-line block ×6, first 2 shown]
	s_mov_b32 s31, s39
	v_readlane_b32 s65, v18, 11
	s_mul_u64 s[38:39], s[94:95], s[30:31]
	s_mul_u64 s[54:55], s[54:55], s[66:67]
	v_readlane_b32 s68, v18, 10
	v_readlane_b32 s69, v18, 11
	s_add_nc_u64 s[54:55], s[38:39], s[54:55]
	s_mul_u64 s[38:39], s[62:63], s[66:67]
	s_mul_u64 s[60:61], s[60:61], s[70:71]
	;; [unrolled: 1-line block ×3, first 2 shown]
	s_add_nc_u64 s[60:61], s[38:39], s[60:61]
	s_mul_u64 s[38:39], s[62:63], s[70:71]
	v_readlane_b32 s12, v16, 24
	s_add_nc_u64 s[64:65], s[38:39], s[64:65]
	s_mul_u64 s[38:39], s[62:63], s[56:57]
	s_mul_u64 s[68:69], s[68:69], s[30:31]
	s_mov_b64 s[34:35], s[90:91]
	s_add_nc_u64 s[68:69], s[38:39], s[68:69]
	s_lshl_b32 s38, s0, 1
	s_and_b32 s1, s12, 0x3ffffff
	s_add_co_i32 s38, s38, s58
	s_mov_b64 s[62:63], s[86:87]
	s_sub_co_i32 s1, s1, s38
	v_writelane_b32 v19, s62, 22
	s_sub_co_i32 s0, s0, s1
	v_writelane_b32 v17, s1, 12
	s_add_co_i32 s98, s0, 0xffffefc
	v_readlane_b32 s0, v18, 10
	v_readlane_b32 s1, v18, 11
	v_writelane_b32 v19, s63, 23
	v_readlane_b32 s13, v16, 25
	s_mov_b64 s[38:39], s[16:17]
	s_mov_b32 s99, s1
	s_delay_alu instid0(SALU_CYCLE_1) | instskip(NEXT) | instid1(SALU_CYCLE_1)
	s_mul_u64 s[0:1], s[98:99], s[72:73]
	s_add_nc_u64 s[0:1], s[0:1], s[4:5]
	s_mul_u64 s[4:5], s[98:99], s[90:91]
	v_writelane_b32 v15, s0, 18
	s_add_nc_u64 s[4:5], s[2:3], s[4:5]
	s_mov_b64 s[90:91], s[18:19]
	s_mul_u64 s[2:3], s[98:99], s[18:19]
	v_readlane_b32 s18, v17, 8
	v_writelane_b32 v15, s1, 19
	s_mul_u64 s[0:1], s[98:99], s[16:17]
	v_readlane_b32 s19, v17, 9
	s_add_nc_u64 s[0:1], s[0:1], s[6:7]
	s_add_nc_u64 s[6:7], s[8:9], s[2:3]
	s_mul_u64 s[2:3], s[98:99], s[24:25]
	s_delay_alu instid0(SALU_CYCLE_1) | instskip(SKIP_4) | instid1(SALU_CYCLE_1)
	s_add_nc_u64 s[8:9], s[28:29], s[2:3]
	s_mul_u64 s[2:3], s[98:99], s[14:15]
	s_mov_b64 s[28:29], s[90:91]
	s_add_nc_u64 s[36:37], s[36:37], s[2:3]
	s_mul_u64 s[2:3], s[18:19], s[74:75]
	s_add_nc_u64 s[84:85], s[40:41], s[2:3]
	s_mul_u64 s[2:3], s[18:19], s[44:45]
	s_delay_alu instid0(SALU_CYCLE_1) | instskip(SKIP_4) | instid1(SALU_CYCLE_1)
	s_add_nc_u64 s[46:47], s[46:47], s[2:3]
	s_mul_u64 s[2:3], s[18:19], s[22:23]
	v_writelane_b32 v19, s22, 24
	s_add_nc_u64 s[48:49], s[48:49], s[2:3]
	s_mul_u64 s[2:3], s[18:19], s[86:87]
	s_add_nc_u64 s[50:51], s[50:51], s[2:3]
	s_mul_u64 s[2:3], s[58:59], s[56:57]
	v_writelane_b32 v19, s23, 25
	s_add_nc_u64 s[54:55], s[54:55], s[2:3]
	s_mul_u64 s[2:3], s[94:95], s[74:75]
	s_delay_alu instid0(SALU_CYCLE_1) | instskip(SKIP_1) | instid1(SALU_CYCLE_1)
	s_add_nc_u64 s[86:87], s[60:61], s[2:3]
	s_mul_u64 s[2:3], s[18:19], s[66:67]
	s_add_nc_u64 s[64:65], s[64:65], s[2:3]
	s_mul_u64 s[2:3], s[18:19], s[70:71]
	s_mov_b64 s[18:19], s[72:73]
	s_add_nc_u64 s[40:41], s[68:69], s[2:3]
	s_lshl_b32 s2, s43, 1
	s_mov_b64 s[68:69], s[34:35]
	s_add_co_i32 s2, s2, vcc_lo
	s_delay_alu instid0(SALU_CYCLE_1) | instskip(NEXT) | instid1(SALU_CYCLE_1)
	s_sub_co_i32 s104, s33, s2
	s_sub_co_i32 s2, s43, s104
	s_delay_alu instid0(SALU_CYCLE_1) | instskip(SKIP_3) | instid1(SALU_CYCLE_1)
	s_add_co_i32 s60, s2, 0xffffffc
	v_readlane_b32 s2, v18, 10
	v_readlane_b32 s3, v18, 11
	s_mov_b32 s61, s3
	s_mul_u64 s[2:3], s[60:61], s[72:73]
	s_delay_alu instid0(SALU_CYCLE_1)
	s_add_nc_u64 s[0:1], s[0:1], s[2:3]
	s_mov_b64 s[2:3], s[24:25]
	v_writelane_b32 v14, s0, 4
	v_writelane_b32 v14, s1, 5
	s_mul_u64 s[0:1], s[60:61], s[16:17]
	v_readlane_b32 s16, v18, 10
	s_add_nc_u64 s[0:1], s[4:5], s[0:1]
	s_mul_u64 s[4:5], s[60:61], s[90:91]
	v_writelane_b32 v14, s0, 6
	v_readlane_b32 s17, v18, 11
	s_mov_b64 s[90:91], s[44:45]
	v_writelane_b32 v14, s1, 7
	s_mul_u64 s[0:1], s[60:61], s[34:35]
	s_delay_alu instid0(SALU_CYCLE_1)
	s_add_nc_u64 s[0:1], s[6:7], s[0:1]
	s_mul_u64 s[6:7], s[82:83], s[30:31]
	v_writelane_b32 v14, s0, 8
	s_add_nc_u64 s[6:7], s[84:85], s[6:7]
	s_mov_b64 s[84:85], s[28:29]
	v_writelane_b32 v14, s1, 9
	s_add_nc_u64 s[0:1], s[8:9], s[4:5]
	s_mul_u64 s[4:5], s[60:61], s[24:25]
	s_mul_u64 s[8:9], s[82:83], s[74:75]
	s_add_nc_u64 s[4:5], s[36:37], s[4:5]
	s_mul_u64 s[36:37], s[82:83], s[44:45]
	s_add_nc_u64 s[8:9], s[46:47], s[8:9]
	s_add_nc_u64 s[36:37], s[48:49], s[36:37]
	s_mul_u64 s[48:49], vcc, s[70:71]
	s_mul_u64 s[46:47], s[82:83], s[22:23]
	s_add_nc_u64 s[48:49], s[54:55], s[48:49]
	s_mul_u64 s[54:55], s[94:95], s[44:45]
	s_add_nc_u64 s[46:47], s[50:51], s[46:47]
	s_add_nc_u64 s[54:55], s[64:65], s[54:55]
	s_mul_u64 s[64:65], s[82:83], s[66:67]
	s_mul_u64 s[50:51], s[58:59], s[30:31]
	s_add_nc_u64 s[40:41], s[40:41], s[64:65]
	s_mul_u64 s[64:65], s[80:81], s[56:57]
	s_add_nc_u64 s[50:51], s[86:87], s[50:51]
	s_add_nc_u64 s[6:7], s[6:7], s[64:65]
	s_mul_u64 s[64:65], s[80:81], s[30:31]
	v_writelane_b32 v15, s0, 14
	s_add_nc_u64 s[8:9], s[8:9], s[64:65]
	s_mul_u64 s[64:65], s[80:81], s[74:75]
	s_delay_alu instid0(SALU_CYCLE_1)
	s_add_nc_u64 s[36:37], s[36:37], s[64:65]
	s_mul_u64 s[64:65], s[80:81], s[44:45]
	v_writelane_b32 v15, s1, 15
	s_add_nc_u64 s[46:47], s[46:47], s[64:65]
	s_mul_u64 s[64:65], vcc, s[56:57]
	v_readlane_b32 s0, v16, 18
	s_add_nc_u64 s[50:51], s[50:51], s[64:65]
	s_mul_u64 s[64:65], s[58:59], s[74:75]
	v_readlane_b32 s1, v16, 19
	s_add_nc_u64 s[54:55], s[54:55], s[64:65]
	s_mul_u64 s[64:65], s[94:95], s[22:23]
	s_and_b32 s43, s0, 0x3fffff
	s_add_nc_u64 s[40:41], s[40:41], s[64:65]
	s_mul_u64 s[64:65], s[92:93], s[70:71]
	s_mov_b64 s[0:1], s[10:11]
	s_add_nc_u64 s[6:7], s[6:7], s[64:65]
	s_mul_u64 s[64:65], s[92:93], s[56:57]
	v_writelane_b32 v19, s0, 8
	s_add_nc_u64 s[8:9], s[8:9], s[64:65]
	s_mul_u64 s[64:65], s[92:93], s[30:31]
	s_lshl_b32 s33, s43, 1
	s_add_nc_u64 s[36:37], s[36:37], s[64:65]
	s_mul_u64 s[64:65], s[92:93], s[74:75]
	v_writelane_b32 v19, s1, 9
	s_add_nc_u64 s[46:47], s[46:47], s[64:65]
	s_mul_u64 s[64:65], vcc, s[30:31]
	s_add_co_i32 s33, s33, s20
	s_add_nc_u64 s[54:55], s[54:55], s[64:65]
	s_mul_u64 s[64:65], s[58:59], s[44:45]
	s_delay_alu instid0(SALU_CYCLE_1) | instskip(SKIP_1) | instid1(SALU_CYCLE_1)
	s_add_nc_u64 s[40:41], s[40:41], s[64:65]
	s_mul_u64 s[64:65], s[20:21], s[66:67]
	s_add_nc_u64 s[6:7], s[6:7], s[64:65]
	s_mul_u64 s[64:65], s[20:21], s[70:71]
	s_delay_alu instid0(SALU_CYCLE_1) | instskip(SKIP_1) | instid1(SALU_CYCLE_1)
	s_add_nc_u64 s[8:9], s[8:9], s[64:65]
	s_mul_u64 s[64:65], s[20:21], s[56:57]
	s_add_nc_u64 s[36:37], s[36:37], s[64:65]
	s_mul_u64 s[64:65], s[20:21], s[30:31]
	s_mul_u64 s[20:21], s[20:21], s[26:27]
	s_add_nc_u64 s[46:47], s[46:47], s[64:65]
	s_mul_u64 s[64:65], vcc, s[74:75]
	s_delay_alu instid0(SALU_CYCLE_1) | instskip(SKIP_1) | instid1(SALU_CYCLE_1)
	s_add_nc_u64 s[64:65], s[40:41], s[64:65]
	s_mul_u64 s[40:41], s[94:95], s[26:27]
	s_add_nc_u64 s[6:7], s[6:7], s[40:41]
	s_mul_u64 s[40:41], s[58:59], s[26:27]
	s_delay_alu instid0(SALU_CYCLE_1) | instskip(SKIP_1) | instid1(SALU_CYCLE_1)
	s_add_nc_u64 s[8:9], s[8:9], s[40:41]
	s_mul_u64 s[40:41], vcc, s[26:27]
	s_add_nc_u64 s[36:37], s[36:37], s[40:41]
	s_mul_u64 s[40:41], s[58:59], s[0:1]
	s_delay_alu instid0(SALU_CYCLE_1) | instskip(SKIP_1) | instid1(SALU_CYCLE_1)
	s_add_nc_u64 s[6:7], s[6:7], s[40:41]
	s_mul_u64 s[40:41], vcc, s[0:1]
	s_add_nc_u64 s[8:9], s[8:9], s[40:41]
	s_mul_u64 s[40:41], vcc, s[62:63]
	s_delay_alu instid0(SALU_CYCLE_1) | instskip(NEXT) | instid1(SALU_CYCLE_1)
	s_add_nc_u64 s[6:7], s[6:7], s[40:41]
	v_writelane_b32 v17, s6, 10
	v_writelane_b32 v17, s7, 11
	s_lshr_b64 s[6:7], s[6:7], 26
	s_delay_alu instid0(SALU_CYCLE_1) | instskip(NEXT) | instid1(SALU_CYCLE_1)
	s_add_nc_u64 s[6:7], s[8:9], s[6:7]
	s_lshr_b64 s[8:9], s[6:7], 26
	s_and_b32 s6, s6, 0x3ffffff
	s_add_nc_u64 s[8:9], s[36:37], s[8:9]
	v_readlane_b32 s36, v18, 10
	v_readlane_b32 s37, v18, 11
	s_mov_b32 s7, s37
	s_mul_u64 s[36:37], s[94:95], s[66:67]
	s_mul_u64 s[40:41], s[6:7], 0x3d10
	s_lshl_b64 s[6:7], s[6:7], 10
	s_add_nc_u64 s[10:11], s[40:41], s[36:37]
	s_add_nc_u64 s[6:7], s[102:103], s[6:7]
	v_writelane_b32 v17, s10, 22
	s_lshr_b64 s[40:41], s[10:11], 26
	s_lshr_b64 s[36:37], s[8:9], 26
	s_add_nc_u64 s[6:7], s[6:7], s[40:41]
	v_readlane_b32 s40, v18, 10
	v_readlane_b32 s41, v18, 11
	s_and_b32 s8, s8, 0x3ffffff
	v_writelane_b32 v17, s11, 23
	s_add_nc_u64 s[36:37], s[46:47], s[36:37]
	s_mov_b32 s9, s41
	s_delay_alu instid0(SALU_CYCLE_1)
	s_lshl_b64 s[40:41], s[8:9], 10
	s_mul_u64 s[8:9], s[8:9], 0x3d10
	s_add_nc_u64 s[40:41], s[52:53], s[40:41]
	s_add_nc_u64 s[10:11], s[6:7], s[8:9]
	s_lshr_b64 s[6:7], s[36:37], 26
	v_writelane_b32 v16, s10, 18
	s_and_b32 s8, s36, 0x3ffffff
	s_mov_b32 s9, s17
	s_lshr_b64 s[36:37], s[10:11], 26
	s_mul_u64 s[16:17], s[8:9], 0x3d10
	v_writelane_b32 v16, s11, 19
	s_add_nc_u64 s[16:17], s[40:41], s[16:17]
	s_lshl_b64 s[8:9], s[8:9], 10
	s_add_nc_u64 s[10:11], s[16:17], s[36:37]
	s_add_nc_u64 s[8:9], s[48:49], s[8:9]
	v_readlane_b32 s0, v16, 20
	v_readlane_b32 s1, v16, 21
	v_writelane_b32 v16, s10, 20
	s_add_nc_u64 s[6:7], s[0:1], s[6:7]
	v_readlane_b32 s0, v17, 14
	v_readlane_b32 s1, v17, 15
	s_lshr_b64 s[16:17], s[6:7], 26
	s_and_b32 s6, s6, 0x3ffffff
	v_writelane_b32 v16, s11, 21
	s_add_nc_u64 s[22:23], s[0:1], s[16:17]
	v_readlane_b32 s16, v18, 10
	v_readlane_b32 s17, v18, 11
	;; [unrolled: 1-line block ×4, first 2 shown]
	s_mov_b32 s7, s17
	s_delay_alu instid0(SALU_CYCLE_1)
	s_mul_u64 s[16:17], s[6:7], 0x3d10
	s_lshl_b64 s[6:7], s[6:7], 10
	s_add_nc_u64 s[8:9], s[8:9], s[16:17]
	s_lshr_b64 s[16:17], s[10:11], 26
	s_add_nc_u64 s[6:7], s[50:51], s[6:7]
	s_add_nc_u64 s[10:11], s[8:9], s[16:17]
	s_lshr_b64 s[8:9], s[22:23], 26
	v_writelane_b32 v17, s10, 14
	s_add_nc_u64 s[16:17], s[0:1], s[8:9]
	s_and_b32 s8, s22, 0x3ffffff
	v_readlane_b32 s22, v18, 10
	v_readlane_b32 s23, v18, 11
	;; [unrolled: 1-line block ×4, first 2 shown]
	s_lshr_b64 s[26:27], s[10:11], 26
	v_writelane_b32 v17, s11, 15
	s_mov_b32 s9, s23
	s_delay_alu instid0(SALU_CYCLE_1) | instskip(NEXT) | instid1(SALU_CYCLE_1)
	s_mul_u64 s[22:23], s[8:9], 0x3d10
	s_add_nc_u64 s[52:53], s[6:7], s[22:23]
	s_lshl_b64 s[6:7], s[8:9], 10
	v_readlane_b32 s8, v18, 10
	v_readlane_b32 s9, v18, 11
	s_add_nc_u64 s[24:25], s[54:55], s[6:7]
	s_lshr_b64 s[6:7], s[16:17], 26
	s_add_nc_u64 s[102:103], s[52:53], s[26:27]
	s_add_nc_u64 s[22:23], s[0:1], s[6:7]
	s_and_b32 s6, s16, 0x3ffffff
	s_mov_b32 s7, s9
	v_readlane_b32 s0, v16, 22
	s_mul_u64 s[8:9], s[6:7], 0x3d10
	v_readlane_b32 s1, v16, 23
	s_add_nc_u64 s[8:9], s[24:25], s[8:9]
	s_lshr_b64 s[24:25], s[102:103], 26
	s_lshl_b64 s[6:7], s[6:7], 10
	s_add_nc_u64 s[10:11], s[8:9], s[24:25]
	v_readlane_b32 s8, v18, 10
	v_readlane_b32 s9, v18, 11
	v_writelane_b32 v16, s10, 22
	s_lshr_b64 s[16:17], s[22:23], 26
	s_and_b32 s22, s22, 0x3ffffff
	s_add_nc_u64 s[6:7], s[64:65], s[6:7]
	s_mov_b32 s23, s9
	s_add_nc_u64 s[72:73], s[0:1], s[16:17]
	s_mul_u64 s[8:9], s[22:23], 0x3d10
	v_writelane_b32 v16, s11, 23
	s_add_nc_u64 s[6:7], s[6:7], s[8:9]
	s_lshr_b64 s[8:9], s[72:73], 26
	s_mov_b64 s[64:65], s[2:3]
	s_add_nc_u64 s[12:13], s[8:9], s[20:21]
	s_lshr_b64 s[8:9], s[10:11], 26
	v_writelane_b32 v15, s12, 2
	s_add_nc_u64 s[34:35], s[6:7], s[8:9]
	v_readlane_b32 s6, v16, 2
	v_readlane_b32 s7, v16, 3
	s_and_b32 s7, s42, 0x3ffffff
	v_writelane_b32 v15, s13, 3
	s_lshl_b32 s8, s7, 1
	s_and_b32 s6, s6, 0x3ffffff
	s_add_co_i32 s8, s8, s92
	s_mov_b64 s[20:21], s[38:39]
	s_sub_co_i32 s6, s6, s8
	v_readlane_b32 s8, v18, 10
	v_readlane_b32 s9, v18, 11
	v_writelane_b32 v17, s6, 18
	s_sub_co_i32 s6, s7, s6
	s_mov_b32 s103, s34
	s_lshl_b64 s[22:23], s[22:23], 10
	s_mul_u64 s[86:87], s[8:9], s[74:75]
	v_readlane_b32 s8, v18, 10
	v_readlane_b32 s9, v18, 11
	s_mul_u64 s[62:63], s[8:9], s[44:45]
	v_readlane_b32 s8, v18, 10
	s_and_b32 s8, s12, 0x3ffffff
	v_readlane_b32 s9, v18, 11
	v_writelane_b32 v18, s8, 10
	s_mul_u64 s[44:45], s[82:83], s[56:57]
	v_writelane_b32 v18, s9, 11
	s_delay_alu instid0(VALU_DEP_1)
	v_readlane_b32 s8, v18, 10
	v_readlane_b32 s9, v18, 11
	s_mul_u64 s[0:1], s[8:9], 0x3d10
	v_readlane_b32 s8, v18, 10
	v_readlane_b32 s9, v18, 11
	v_writelane_b32 v14, s0, 2
	s_lshl_b64 s[8:9], s[8:9], 10
	v_writelane_b32 v14, s1, 3
	v_writelane_b32 v16, s8, 28
	v_readlane_b32 s0, v15, 6
	v_readlane_b32 s1, v15, 7
	v_writelane_b32 v16, s9, 29
	v_readlane_b32 s8, v18, 10
	s_add_co_i32 s8, s6, 0xffffffc
	v_readlane_b32 s9, v18, 11
	v_writelane_b32 v18, s8, 10
	v_readlane_b32 s12, v16, 10
	v_readlane_b32 s13, v16, 11
	s_delay_alu instid0(VALU_DEP_4) | instskip(SKIP_1) | instid1(SALU_CYCLE_1)
	v_writelane_b32 v18, s9, 11
	s_and_b32 s17, s12, 0x3fffff
	s_sub_co_i32 s33, s17, s33
	s_delay_alu instid0(VALU_DEP_1)
	v_readlane_b32 s6, v18, 10
	v_readlane_b32 s7, v18, 11
	v_readlane_b32 s8, v18, 10
	v_readlane_b32 s9, v18, 11
	v_readlane_b32 s24, v18, 10
	v_readlane_b32 s25, v18, 11
	s_mul_u64 s[6:7], s[6:7], s[38:39]
	v_readlane_b32 s36, v18, 10
	s_add_nc_u64 s[6:7], s[0:1], s[6:7]
	v_readlane_b32 s0, v15, 22
	v_readlane_b32 s1, v15, 23
	s_mul_u64 s[8:9], s[8:9], s[68:69]
	s_mul_u64 s[24:25], s[24:25], s[28:29]
	v_readlane_b32 s37, v18, 11
	v_readlane_b32 s40, v18, 10
	s_add_nc_u64 s[8:9], s[0:1], s[8:9]
	v_readlane_b32 s0, v15, 8
	v_readlane_b32 s1, v15, 9
	s_mul_u64 s[36:37], s[36:37], s[2:3]
	v_readlane_b32 s10, v18, 18
	v_readlane_b32 s41, v18, 11
	;; [unrolled: 1-line block ×3, first 2 shown]
	s_add_nc_u64 s[24:25], s[0:1], s[24:25]
	v_readlane_b32 s0, v15, 20
	v_readlane_b32 s1, v15, 21
	;; [unrolled: 1-line block ×3, first 2 shown]
	s_mul_u64 s[40:41], s[40:41], s[10:11]
	v_readlane_b32 s50, v18, 22
	v_readlane_b32 s47, v18, 11
	s_add_nc_u64 s[36:37], s[0:1], s[36:37]
	v_readlane_b32 s0, v15, 10
	v_readlane_b32 s1, v15, 11
	;; [unrolled: 1-line block ×6, first 2 shown]
	s_add_nc_u64 s[40:41], s[0:1], s[40:41]
	v_readlane_b32 s0, v15, 16
	v_readlane_b32 s1, v15, 17
	s_mul_u64 s[46:47], s[46:47], s[50:51]
	v_readlane_b32 s3, v16, 27
	v_readlane_b32 s14, v18, 26
	;; [unrolled: 1-line block ×3, first 2 shown]
	s_add_nc_u64 s[46:47], s[0:1], s[46:47]
	v_readlane_b32 s0, v18, 20
	v_readlane_b32 s1, v18, 21
	;; [unrolled: 1-line block ×4, first 2 shown]
	s_sub_co_i32 s17, s43, s33
	v_readlane_b32 s42, v18, 10
	s_mul_u64 s[48:49], s[48:49], s[0:1]
	v_readlane_b32 s43, v18, 11
	s_add_nc_u64 s[48:49], s[2:3], s[48:49]
	v_readlane_b32 s2, v18, 24
	v_readlane_b32 s3, v18, 25
	s_mul_u64 s[52:53], s[100:101], s[14:15]
	s_mov_b64 s[12:13], s[14:15]
	s_mul_u64 s[54:55], s[54:55], s[2:3]
	s_mov_b64 s[26:27], s[2:3]
	s_add_nc_u64 s[54:55], s[54:55], s[52:53]
	s_add_co_i32 s52, s17, 0xfffffc
	s_mov_b32 s53, s43
	s_mov_b64 s[16:17], s[0:1]
	s_mul_u64 s[42:43], s[52:53], s[18:19]
	s_delay_alu instid0(SALU_CYCLE_1) | instskip(SKIP_1) | instid1(SALU_CYCLE_1)
	s_add_nc_u64 s[6:7], s[6:7], s[42:43]
	s_mul_u64 s[42:43], s[52:53], s[38:39]
	s_add_nc_u64 s[8:9], s[8:9], s[42:43]
	s_mul_u64 s[42:43], s[52:53], s[68:69]
	s_delay_alu instid0(SALU_CYCLE_1) | instskip(SKIP_1) | instid1(SALU_CYCLE_1)
	s_add_nc_u64 s[24:25], s[24:25], s[42:43]
	s_mul_u64 s[42:43], s[52:53], s[28:29]
	s_add_nc_u64 s[36:37], s[36:37], s[42:43]
	;; [unrolled: 5-line block ×3, first 2 shown]
	s_mul_u64 s[46:47], s[52:53], s[50:51]
	s_delay_alu instid0(SALU_CYCLE_1)
	s_add_nc_u64 s[48:49], s[48:49], s[46:47]
	s_mul_u64 s[46:47], s[52:53], s[0:1]
	v_readlane_b32 s0, v15, 12
	v_readlane_b32 s1, v15, 13
	s_add_nc_u64 s[54:55], s[54:55], s[46:47]
	s_mul_u64 s[46:47], s[98:99], s[14:15]
	s_delay_alu instid0(SALU_CYCLE_1)
	s_add_nc_u64 s[8:9], s[8:9], s[46:47]
	s_mul_u64 s[46:47], s[60:61], s[14:15]
	s_add_nc_u64 s[6:7], s[6:7], s[0:1]
	s_add_nc_u64 s[46:47], s[24:25], s[46:47]
	s_mul_u64 s[24:25], s[98:99], s[2:3]
	v_readlane_b32 s0, v15, 4
	s_add_nc_u64 s[6:7], s[6:7], s[24:25]
	s_mul_u64 s[24:25], s[60:61], s[2:3]
	v_readlane_b32 s1, v15, 5
	;; [unrolled: 3-line block ×3, first 2 shown]
	s_add_nc_u64 s[24:25], s[6:7], s[24:25]
	v_readlane_b32 s15, v17, 5
	s_lshr_b64 s[6:7], s[24:25], 26
	s_delay_alu instid0(SALU_CYCLE_1) | instskip(NEXT) | instid1(SALU_CYCLE_1)
	s_add_nc_u64 s[6:7], s[8:9], s[6:7]
	s_lshr_b64 s[8:9], s[6:7], 26
	s_and_b32 s6, s6, 0x3ffffff
	s_add_nc_u64 s[8:9], s[46:47], s[8:9]
	v_readlane_b32 s46, v18, 10
	v_readlane_b32 s47, v18, 11
	s_lshr_b64 s[38:39], s[8:9], 26
	s_and_b32 s8, s8, 0x3ffffff
	s_add_nc_u64 s[36:37], s[36:37], s[38:39]
	s_mov_b32 s7, s47
	s_delay_alu instid0(SALU_CYCLE_1)
	s_mul_u64 s[46:47], s[6:7], 0x3d10
	s_lshl_b64 s[6:7], s[6:7], 10
	s_add_nc_u64 s[46:47], s[46:47], s[0:1]
	v_readlane_b32 s0, v15, 18
	v_readlane_b32 s1, v15, 19
	v_writelane_b32 v16, s46, 24
	s_lshr_b64 s[38:39], s[46:47], 26
	s_add_nc_u64 s[6:7], s[0:1], s[6:7]
	v_writelane_b32 v16, s47, 25
	s_add_nc_u64 s[6:7], s[6:7], s[38:39]
	v_readlane_b32 s38, v18, 10
	v_readlane_b32 s39, v18, 11
	;; [unrolled: 1-line block ×4, first 2 shown]
	s_mov_b32 s9, s39
	s_delay_alu instid0(SALU_CYCLE_1)
	s_lshl_b64 s[38:39], s[8:9], 10
	s_mul_u64 s[8:9], s[8:9], 0x3d10
	s_add_nc_u64 s[2:3], s[0:1], s[38:39]
	s_add_nc_u64 s[46:47], s[6:7], s[8:9]
	s_lshr_b64 s[6:7], s[36:37], 26
	s_and_b32 s8, s36, 0x3ffffff
	v_readlane_b32 s36, v18, 10
	v_readlane_b32 s37, v18, 11
	;; [unrolled: 1-line block ×3, first 2 shown]
	s_lshr_b64 s[28:29], s[46:47], 26
	v_readlane_b32 s1, v14, 7
	s_add_nc_u64 s[6:7], s[40:41], s[6:7]
	s_mov_b32 s9, s37
	s_delay_alu instid0(SALU_CYCLE_1)
	s_mul_u64 s[36:37], s[8:9], 0x3d10
	s_lshl_b64 s[8:9], s[8:9], 10
	s_add_nc_u64 s[2:3], s[2:3], s[36:37]
	s_add_nc_u64 s[8:9], s[0:1], s[8:9]
	;; [unrolled: 1-line block ×3, first 2 shown]
	v_readlane_b32 s28, v18, 10
	v_readlane_b32 s29, v18, 11
	;; [unrolled: 1-line block ×4, first 2 shown]
	s_lshr_b64 s[2:3], s[6:7], 26
	s_and_b32 s6, s6, 0x3ffffff
	s_mov_b32 s7, s29
	v_writelane_b32 v16, s36, 10
	s_mul_u64 s[28:29], s[6:7], 0x3d10
	s_lshl_b64 s[6:7], s[6:7], 10
	s_add_nc_u64 s[8:9], s[8:9], s[28:29]
	s_add_nc_u64 s[0:1], s[0:1], s[6:7]
	s_lshr_b64 s[6:7], s[36:37], 26
	v_writelane_b32 v16, s37, 11
	s_add_nc_u64 s[28:29], s[8:9], s[6:7]
	v_readlane_b32 s8, v18, 10
	v_readlane_b32 s9, v18, 11
	s_add_nc_u64 s[2:3], s[42:43], s[2:3]
	v_writelane_b32 v16, s28, 2
	s_lshr_b64 s[6:7], s[2:3], 26
	s_and_b32 s2, s2, 0x3ffffff
	s_mov_b32 s3, s9
	s_add_nc_u64 s[6:7], s[48:49], s[6:7]
	s_mul_u64 s[8:9], s[2:3], 0x3d10
	v_writelane_b32 v16, s29, 3
	s_add_nc_u64 s[8:9], s[0:1], s[8:9]
	s_lshr_b64 s[28:29], s[28:29], 26
	s_lshl_b64 s[0:1], s[2:3], 10
	v_readlane_b32 s2, v15, 14
	s_add_nc_u64 s[8:9], s[8:9], s[28:29]
	v_readlane_b32 s28, v18, 10
	v_readlane_b32 s3, v15, 15
	;; [unrolled: 1-line block ×3, first 2 shown]
	s_mul_u64 s[36:37], s[88:89], s[68:69]
	s_mul_u64 s[68:69], s[96:97], s[68:69]
	;; [unrolled: 1-line block ×3, first 2 shown]
	s_add_nc_u64 s[2:3], s[2:3], s[0:1]
	s_lshr_b64 s[0:1], s[6:7], 26
	s_and_b32 s6, s6, 0x3ffffff
	s_mov_b32 s7, s29
	s_add_nc_u64 s[0:1], s[54:55], s[0:1]
	s_mul_u64 s[28:29], s[6:7], 0x3d10
	s_lshl_b64 s[6:7], s[6:7], 10
	s_add_nc_u64 s[2:3], s[2:3], s[28:29]
	s_add_nc_u64 s[4:5], s[4:5], s[6:7]
	s_lshr_b64 s[6:7], s[8:9], 26
	s_mul_u64 s[54:55], s[80:81], s[70:71]
	s_add_nc_u64 s[42:43], s[2:3], s[6:7]
	v_readlane_b32 s2, v18, 10
	v_readlane_b32 s3, v18, 11
	s_and_b32 s2, s0, 0x3ffffff
	s_mul_u64 s[70:71], s[96:97], s[20:21]
	s_lshr_b64 s[0:1], s[0:1], 26
	v_readlane_b32 s82, v19, 6
	s_mul_u64 s[6:7], s[2:3], 0x3d10
	s_lshl_b64 s[2:3], s[2:3], 10
	s_add_nc_u64 s[4:5], s[4:5], s[6:7]
	s_lshr_b64 s[6:7], s[42:43], 26
	v_readlane_b32 s83, v19, 7
	s_add_nc_u64 s[28:29], s[4:5], s[6:7]
	s_and_b64 s[4:5], s[102:103], 0x3ffffff03ffffff
	s_mov_b32 s9, s28
	s_delay_alu instid0(SALU_CYCLE_1)
	s_and_b64 s[6:7], s[8:9], 0x3ffffff03ffffff
	s_mul_u64 s[8:9], s[78:79], s[84:85]
	s_sub_co_i32 s47, s6, s4
	s_sub_co_i32 s25, s7, s5
	s_mul_u64 s[4:5], s[76:77], s[64:65]
	s_mul_u64 s[6:7], s[78:79], s[64:65]
	s_add_nc_u64 s[4:5], s[8:9], s[4:5]
	s_mul_u64 s[8:9], s[76:77], s[10:11]
	s_add_nc_u64 s[4:5], s[4:5], s[36:37]
	s_add_nc_u64 s[6:7], s[6:7], s[8:9]
	s_mul_u64 s[8:9], s[88:89], s[84:85]
	s_mul_u64 s[36:37], s[14:15], s[30:31]
	s_add_nc_u64 s[6:7], s[6:7], s[8:9]
	s_mul_u64 s[8:9], s[14:15], s[74:75]
	v_readlane_b32 s14, v17, 8
	v_readlane_b32 s15, v17, 9
	s_add_nc_u64 s[6:7], s[6:7], s[68:69]
	s_mul_u64 s[68:69], s[100:101], s[20:21]
	s_add_nc_u64 s[4:5], s[4:5], s[70:71]
	s_add_nc_u64 s[6:7], s[6:7], s[68:69]
	s_mul_u64 s[38:39], s[14:15], s[30:31]
	s_mul_u64 s[40:41], s[14:15], s[56:57]
	v_readlane_b32 s14, v19, 8
	v_readlane_b32 s15, v19, 9
	s_mul_u64 s[70:71], s[100:101], s[18:19]
	s_add_nc_u64 s[36:37], s[36:37], s[86:87]
	s_add_nc_u64 s[4:5], s[4:5], s[70:71]
	;; [unrolled: 1-line block ×3, first 2 shown]
	s_mul_u64 s[68:69], s[94:95], s[14:15]
	v_readlane_b32 s14, v19, 22
	v_readlane_b32 s15, v19, 23
	s_add_nc_u64 s[36:37], s[36:37], s[40:41]
	s_add_nc_u64 s[8:9], s[8:9], s[38:39]
	s_mul_u64 s[56:57], s[80:81], s[66:67]
	s_add_nc_u64 s[8:9], s[8:9], s[44:45]
	s_mul_u64 s[70:71], s[94:95], s[14:15]
	s_mul_u64 s[76:77], s[58:59], s[14:15]
	v_readlane_b32 s14, v19, 24
	v_readlane_b32 s15, v19, 25
	s_add_nc_u64 s[36:37], s[36:37], s[48:49]
	s_mul_u64 s[64:65], s[92:93], s[66:67]
	v_readlane_b32 s84, v18, 10
	s_add_nc_u64 s[8:9], s[8:9], s[54:55]
	s_mul_u64 s[58:59], s[58:59], s[14:15]
	s_mul_u64 s[80:81], vcc, s[14:15]
	v_readlane_b32 s14, v15, 0
	s_add_nc_u64 s[36:37], s[36:37], s[56:57]
	v_readlane_b32 s85, v18, 11
	v_readlane_b32 s15, v15, 1
	s_add_nc_u64 s[8:9], s[8:9], s[64:65]
	s_add_nc_u64 s[36:37], s[36:37], s[70:71]
	s_mul_u64 s[78:79], vcc, s[90:91]
	s_add_nc_u64 s[8:9], s[8:9], s[68:69]
	s_add_nc_u64 s[36:37], s[36:37], s[58:59]
	;; [unrolled: 1-line block ×3, first 2 shown]
	s_mul_u64 s[62:63], s[98:99], s[16:17]
	s_mov_b64 s[14:15], s[50:51]
	s_mul_u64 s[50:51], s[98:99], s[50:51]
	s_add_nc_u64 s[8:9], s[8:9], s[76:77]
	s_add_nc_u64 s[36:37], s[36:37], s[78:79]
	s_and_b32 s16, s72, 0x3ffffff
	s_mov_b32 s17, s85
	s_add_nc_u64 s[4:5], s[4:5], s[50:51]
	s_mul_u64 s[50:51], s[60:61], s[10:11]
	s_add_nc_u64 s[8:9], s[8:9], s[80:81]
	s_add_nc_u64 s[22:23], s[36:37], s[22:23]
	s_mul_u64 s[36:37], s[16:17], 0x3d10
	s_lshl_b64 s[16:17], s[16:17], 10
	v_readlane_b32 s10, v14, 2
	v_readlane_b32 s11, v14, 3
	s_add_nc_u64 s[22:23], s[22:23], s[36:37]
	s_add_nc_u64 s[8:9], s[8:9], s[16:17]
	s_lshr_b64 s[16:17], s[34:35], 26
	s_mul_u64 s[20:21], s[52:53], s[26:27]
	s_mul_u64 s[26:27], s[84:85], s[12:13]
	s_add_nc_u64 s[16:17], s[22:23], s[16:17]
	s_add_nc_u64 s[20:21], s[20:21], s[26:27]
	s_mul_u64 s[26:27], s[84:85], s[18:19]
	s_add_nc_u64 s[8:9], s[8:9], s[10:11]
	s_add_nc_u64 s[6:7], s[6:7], s[26:27]
	s_lshr_b64 s[26:27], s[16:17], 26
	s_add_nc_u64 s[4:5], s[4:5], s[50:51]
	s_add_nc_u64 s[50:51], s[8:9], s[26:27]
	v_readlane_b32 s8, v16, 30
	v_readlane_b32 s9, v16, 31
	s_add_nc_u64 s[0:1], s[20:21], s[0:1]
	s_mul_u64 s[22:23], s[52:53], s[12:13]
	s_add_nc_u64 s[2:3], s[4:5], s[2:3]
	s_lshr_b64 s[4:5], s[0:1], 26
	s_add_nc_u64 s[6:7], s[6:7], s[8:9]
	s_and_b32 s0, s0, 0x3ffffff
	s_mov_b32 s1, s85
	s_mul_u64 s[60:61], s[60:61], s[14:15]
	s_add_nc_u64 s[6:7], s[6:7], s[62:63]
	s_add_nc_u64 s[56:57], s[4:5], s[22:23]
	s_mul_u64 s[4:5], s[0:1], 0x3d10
	s_add_nc_u64 s[6:7], s[6:7], s[60:61]
	s_add_nc_u64 s[2:3], s[2:3], s[4:5]
	s_lshl_b64 s[0:1], s[0:1], 10
	s_lshr_b64 s[4:5], s[28:29], 26
	s_and_b32 s84, s56, 0x3ffffff
	s_add_nc_u64 s[0:1], s[6:7], s[0:1]
	s_add_nc_u64 s[2:3], s[2:3], s[4:5]
	s_mul_u64 s[4:5], s[84:85], 0x3d10
	v_readlane_b32 s78, v19, 18
	s_add_nc_u64 s[0:1], s[0:1], s[4:5]
	s_lshr_b64 s[4:5], s[2:3], 26
	v_readlane_b32 s28, v15, 26
	s_add_nc_u64 s[44:45], s[0:1], s[4:5]
	v_readlane_b32 s36, v18, 28
	v_readlane_b32 s76, v19, 10
	;; [unrolled: 1-line block ×6, first 2 shown]
	s_mov_b32 s17, s50
	s_mov_b32 s3, s44
	s_and_b64 s[0:1], s[16:17], 0x3ffffff03ffffff
	s_and_b64 s[2:3], s[2:3], 0x3ffffff03ffffff
	v_readlane_b32 s58, v19, 14
	v_readlane_b32 s59, v19, 15
	s_sub_co_i32 s43, s2, s0
	s_sub_co_i32 s70, s3, s1
	s_mul_u64 s[0:1], s[28:29], s[78:79]
	s_mul_u64 s[2:3], s[36:37], s[76:77]
	v_readlane_b32 s60, v18, 16
	v_readlane_b32 s61, v18, 17
	s_add_nc_u64 s[0:1], s[2:3], s[0:1]
	s_mul_u64 s[2:3], s[28:29], s[82:83]
	s_mul_u64 s[4:5], s[36:37], s[78:79]
	v_readlane_b32 s64, v19, 4
	v_readlane_b32 s40, v18, 14
	;; [unrolled: 1-line block ×4, first 2 shown]
	s_add_nc_u64 s[2:3], s[4:5], s[2:3]
	s_mul_u64 s[4:5], s[28:29], s[58:59]
	s_mul_u64 s[6:7], s[36:37], s[82:83]
	v_readlane_b32 s80, v19, 16
	v_readlane_b32 s81, v19, 17
	s_add_nc_u64 s[4:5], s[6:7], s[4:5]
	s_mul_u64 s[6:7], s[60:61], s[28:29]
	s_mul_u64 s[8:9], s[36:37], s[58:59]
	v_readlane_b32 s68, v19, 12
	v_readlane_b32 s69, v19, 13
	;; [unrolled: 5-line block ×3, first 2 shown]
	s_add_nc_u64 s[16:17], s[16:17], s[8:9]
	s_mul_u64 s[8:9], s[28:29], s[80:81]
	s_mul_u64 s[20:21], s[36:37], s[64:65]
	;; [unrolled: 1-line block ×3, first 2 shown]
	s_add_nc_u64 s[8:9], s[20:21], s[8:9]
	s_mul_u64 s[20:21], s[28:29], s[68:69]
	v_readlane_b32 s38, v18, 30
	v_readlane_b32 s39, v18, 31
	s_add_nc_u64 s[20:21], s[22:23], s[20:21]
	s_mul_u64 s[22:23], s[28:29], s[74:75]
	s_mul_u64 s[26:27], s[36:37], s[68:69]
	s_mov_b64 s[54:55], s[28:29]
	s_add_nc_u64 s[22:23], s[26:27], s[22:23]
	s_mul_u64 s[26:27], s[28:29], s[76:77]
	s_mul_u64 s[28:29], s[36:37], s[74:75]
	v_readlane_b32 s10, v17, 2
	s_add_nc_u64 s[26:27], s[28:29], s[26:27]
	s_mul_u64 s[28:29], s[38:39], s[74:75]
	v_readlane_b32 s11, v17, 3
	s_add_nc_u64 s[0:1], s[0:1], s[28:29]
	s_mul_u64 s[28:29], s[38:39], s[76:77]
	s_mov_b64 s[62:63], s[40:41]
	s_add_nc_u64 s[2:3], s[2:3], s[28:29]
	s_mul_u64 s[28:29], s[38:39], s[78:79]
	s_mov_b64 s[12:13], s[10:11]
	s_add_nc_u64 s[4:5], s[4:5], s[28:29]
	s_mul_u64 s[28:29], s[38:39], s[82:83]
	s_mul_u64 s[34:35], s[60:61], s[12:13]
	s_add_nc_u64 s[6:7], s[6:7], s[28:29]
	s_mul_u64 s[28:29], s[60:61], s[36:37]
	s_mul_u64 s[36:37], s[38:39], s[58:59]
	v_readlane_b32 s30, v14, 0
	s_add_nc_u64 s[28:29], s[36:37], s[28:29]
	s_mul_u64 s[36:37], s[38:39], s[40:41]
	v_readlane_b32 s31, v14, 1
	s_add_nc_u64 s[8:9], s[8:9], s[36:37]
	;; [unrolled: 3-line block ×4, first 2 shown]
	s_mul_u64 s[36:37], s[38:39], s[68:69]
	s_mov_b32 s93, s85
	s_add_nc_u64 s[26:27], s[26:27], s[36:37]
	s_mul_u64 s[36:37], s[10:11], s[68:69]
	v_readlane_b32 s86, v18, 4
	s_add_nc_u64 s[0:1], s[0:1], s[36:37]
	s_mul_u64 s[36:37], s[10:11], s[74:75]
	v_readlane_b32 s100, v18, 6
	;; [unrolled: 3-line block ×5, first 2 shown]
	s_add_nc_u64 s[28:29], s[28:29], s[36:37]
	s_mul_u64 s[36:37], s[60:61], s[38:39]
	s_mul_u64 s[38:39], s[10:11], s[58:59]
	v_readlane_b32 s99, v18, 3
	s_add_nc_u64 s[36:37], s[38:39], s[36:37]
	s_mul_u64 s[38:39], s[10:11], s[40:41]
	s_mov_b32 s87, s85
	s_add_nc_u64 s[38:39], s[20:21], s[38:39]
	s_mul_u64 s[20:21], s[10:11], s[64:65]
	s_mov_b32 s101, s85
	s_add_nc_u64 s[20:21], s[22:23], s[20:21]
	s_mul_u64 s[22:23], s[10:11], s[80:81]
	v_readlane_b32 s10, v15, 28
	v_readlane_b32 s11, v15, 29
	s_add_nc_u64 s[22:23], s[26:27], s[22:23]
	s_mov_b32 s89, s85
	s_mov_b32 s91, s85
	;; [unrolled: 1-line block ×3, first 2 shown]
	s_mul_u64 s[26:27], s[10:11], s[80:81]
	s_mov_b64 s[12:13], s[10:11]
	s_add_nc_u64 s[0:1], s[0:1], s[26:27]
	s_mul_u64 s[26:27], s[10:11], s[68:69]
	s_mul_u64 s[18:19], s[60:61], s[12:13]
	s_add_nc_u64 s[2:3], s[2:3], s[26:27]
	s_mul_u64 s[26:27], s[10:11], s[74:75]
	v_readlane_b32 s12, v15, 30
	s_add_nc_u64 s[4:5], s[4:5], s[26:27]
	s_mul_u64 s[26:27], s[10:11], s[76:77]
	v_readlane_b32 s13, v15, 31
	s_add_nc_u64 s[6:7], s[6:7], s[26:27]
	s_mul_u64 s[26:27], s[10:11], s[78:79]
	s_lshr_b64 s[44:45], s[44:45], 26
	s_add_nc_u64 s[26:27], s[28:29], s[26:27]
	s_mul_u64 s[28:29], s[10:11], s[82:83]
	s_delay_alu instid0(SALU_CYCLE_1) | instskip(SKIP_1) | instid1(SALU_CYCLE_1)
	s_add_nc_u64 s[28:29], s[36:37], s[28:29]
	s_mul_u64 s[36:37], s[10:11], s[58:59]
	s_add_nc_u64 s[34:35], s[36:37], s[34:35]
	s_mul_u64 s[36:37], s[10:11], s[40:41]
	s_delay_alu instid0(SALU_CYCLE_1)
	s_add_nc_u64 s[36:37], s[20:21], s[36:37]
	s_mul_u64 s[20:21], s[10:11], s[64:65]
	v_readlane_b32 s10, v15, 24
	v_readlane_b32 s11, v15, 25
	s_add_nc_u64 s[20:21], s[22:23], s[20:21]
	s_mul_u64 s[22:23], s[10:11], s[64:65]
	s_delay_alu instid0(SALU_CYCLE_1) | instskip(SKIP_1) | instid1(SALU_CYCLE_1)
	s_add_nc_u64 s[0:1], s[0:1], s[22:23]
	s_mul_u64 s[22:23], s[10:11], s[80:81]
	s_add_nc_u64 s[2:3], s[2:3], s[22:23]
	s_mul_u64 s[22:23], s[10:11], s[68:69]
	s_delay_alu instid0(SALU_CYCLE_1) | instskip(SKIP_1) | instid1(SALU_CYCLE_1)
	s_add_nc_u64 s[4:5], s[4:5], s[22:23]
	s_mul_u64 s[22:23], s[10:11], s[74:75]
	;; [unrolled: 5-line block ×6, first 2 shown]
	s_add_nc_u64 s[4:5], s[4:5], s[0:1]
	s_mul_u64 s[0:1], s[12:13], s[68:69]
	s_delay_alu instid0(SALU_CYCLE_1) | instskip(SKIP_4) | instid1(SALU_CYCLE_1)
	s_add_nc_u64 s[52:53], s[6:7], s[0:1]
	s_mul_u64 s[0:1], s[12:13], s[74:75]
	s_mul_u64 s[6:7], s[12:13], s[58:59]
	s_add_nc_u64 s[22:23], s[22:23], s[0:1]
	s_mul_u64 s[0:1], s[12:13], s[76:77]
	s_add_nc_u64 s[26:27], s[26:27], s[0:1]
	s_mul_u64 s[0:1], s[12:13], s[78:79]
	s_delay_alu instid0(SALU_CYCLE_1)
	s_add_nc_u64 s[20:21], s[28:29], s[0:1]
	s_mul_u64 s[0:1], s[12:13], s[82:83]
	s_mul_u64 s[28:29], s[30:31], s[82:83]
	s_add_nc_u64 s[2:3], s[18:19], s[0:1]
	s_mul_u64 s[0:1], s[60:61], s[10:11]
	s_mul_u64 s[10:11], s[54:55], s[62:63]
	;; [unrolled: 1-line block ×3, first 2 shown]
	s_add_nc_u64 s[0:1], s[6:7], s[0:1]
	s_add_nc_u64 s[10:11], s[18:19], s[10:11]
	s_mul_u64 s[18:19], s[30:31], s[74:75]
	s_mul_u64 s[6:7], s[60:61], s[30:31]
	s_add_nc_u64 s[16:17], s[16:17], s[18:19]
	s_mul_u64 s[18:19], s[30:31], s[76:77]
	s_add_nc_u64 s[28:29], s[36:37], s[28:29]
	;; [unrolled: 2-line block ×3, first 2 shown]
	s_add_nc_u64 s[8:9], s[8:9], s[18:19]
	s_mul_u64 s[18:19], s[30:31], s[78:79]
	s_add_nc_u64 s[34:35], s[34:35], s[36:37]
	s_mul_u64 s[36:37], s[14:15], s[58:59]
	s_add_nc_u64 s[18:19], s[38:39], s[18:19]
	s_add_nc_u64 s[6:7], s[6:7], s[36:37]
	s_mul_u64 s[36:37], s[60:61], s[14:15]
	s_mul_u64 s[38:39], s[30:31], s[64:65]
	;; [unrolled: 1-line block ×3, first 2 shown]
	s_add_nc_u64 s[36:37], s[48:49], s[36:37]
	s_add_nc_u64 s[38:39], s[40:41], s[38:39]
	s_mul_u64 s[40:41], s[30:31], s[80:81]
	s_mul_u64 s[48:49], s[14:15], s[64:65]
	;; [unrolled: 1-line block ×3, first 2 shown]
	s_add_nc_u64 s[40:41], s[48:49], s[40:41]
	s_mul_u64 s[48:49], s[14:15], s[80:81]
	s_delay_alu instid0(SALU_CYCLE_1) | instskip(SKIP_1) | instid1(SALU_CYCLE_1)
	s_add_nc_u64 s[10:11], s[10:11], s[48:49]
	s_mul_u64 s[48:49], s[14:15], s[68:69]
	s_add_nc_u64 s[48:49], s[16:17], s[48:49]
	s_mul_u64 s[16:17], s[14:15], s[74:75]
	s_delay_alu instid0(SALU_CYCLE_1) | instskip(SKIP_1) | instid1(SALU_CYCLE_1)
	s_add_nc_u64 s[8:9], s[8:9], s[16:17]
	s_mul_u64 s[16:17], s[14:15], s[76:77]
	s_add_nc_u64 s[18:19], s[18:19], s[16:17]
	s_mul_u64 s[16:17], s[14:15], s[78:79]
	s_delay_alu instid0(SALU_CYCLE_1)
	s_add_nc_u64 s[28:29], s[28:29], s[16:17]
	s_mul_u64 s[16:17], s[60:61], s[12:13]
	s_mul_u64 s[12:13], s[14:15], s[82:83]
	v_readlane_b32 s14, v16, 4
	v_readlane_b32 s15, v16, 5
	s_add_nc_u64 s[34:35], s[34:35], s[12:13]
	s_mul_u64 s[54:55], s[14:15], s[82:83]
	s_mul_u64 s[58:59], s[14:15], s[58:59]
	;; [unrolled: 1-line block ×3, first 2 shown]
	s_add_nc_u64 s[12:13], s[6:7], s[54:55]
	s_add_nc_u64 s[6:7], s[36:37], s[58:59]
	;; [unrolled: 1-line block ×3, first 2 shown]
	s_lshr_b64 s[8:9], s[12:13], 26
	s_mul_u64 s[60:61], s[60:61], s[14:15]
	s_add_nc_u64 s[6:7], s[6:7], s[8:9]
	s_add_nc_u64 s[4:5], s[4:5], s[60:61]
	s_lshr_b64 s[8:9], s[6:7], 26
	s_mul_u64 s[62:63], s[14:15], s[62:63]
	s_add_nc_u64 s[4:5], s[4:5], s[8:9]
	s_and_b32 s8, s6, 0x3ffffff
	s_mov_b32 s9, s85
	s_mul_u64 s[64:65], s[14:15], s[64:65]
	s_mul_u64 s[6:7], s[8:9], 0x3d10
	s_add_nc_u64 s[36:37], s[40:41], s[62:63]
	s_add_nc_u64 s[40:41], s[10:11], s[64:65]
	;; [unrolled: 1-line block ×3, first 2 shown]
	s_lshl_b64 s[8:9], s[8:9], 10
	s_lshr_b64 s[10:11], s[4:5], 26
	s_add_nc_u64 s[8:9], s[38:39], s[8:9]
	s_add_nc_u64 s[30:31], s[52:53], s[10:11]
	s_lshr_b64 s[10:11], s[6:7], 26
	s_and_b32 s4, s4, 0x3ffffff
	s_mov_b32 s5, s85
	s_mul_u64 s[66:67], s[14:15], s[80:81]
	s_mul_u64 s[74:75], s[14:15], s[74:75]
	;; [unrolled: 1-line block ×4, first 2 shown]
	s_add_nc_u64 s[8:9], s[8:9], s[10:11]
	s_lshl_b64 s[10:11], s[4:5], 10
	s_mul_u64 s[4:5], s[4:5], 0x3d10
	s_add_nc_u64 s[14:15], s[34:35], s[14:15]
	s_add_nc_u64 s[34:35], s[36:37], s[10:11]
	;; [unrolled: 1-line block ×3, first 2 shown]
	s_lshr_b64 s[4:5], s[30:31], 26
	s_and_b32 s8, s30, 0x3ffffff
	s_mov_b32 s9, s85
	s_add_nc_u64 s[4:5], s[22:23], s[4:5]
	s_mul_u64 s[22:23], s[8:9], 0x3d10
	s_lshl_b64 s[8:9], s[8:9], 10
	s_add_nc_u64 s[22:23], s[34:35], s[22:23]
	s_add_nc_u64 s[30:31], s[40:41], s[8:9]
	s_lshr_b64 s[8:9], s[10:11], 26
	s_add_nc_u64 s[48:49], s[48:49], s[66:67]
	s_add_nc_u64 s[8:9], s[22:23], s[8:9]
	s_lshr_b64 s[22:23], s[4:5], 26
	s_and_b32 s4, s4, 0x3ffffff
	s_mov_b32 s5, s85
	s_add_nc_u64 s[22:23], s[26:27], s[22:23]
	s_mul_u64 s[26:27], s[4:5], 0x3d10
	s_lshl_b64 s[4:5], s[4:5], 10
	s_add_nc_u64 s[26:27], s[30:31], s[26:27]
	s_lshr_b64 s[30:31], s[8:9], 26
	s_add_nc_u64 s[4:5], s[48:49], s[4:5]
	s_add_nc_u64 s[34:35], s[26:27], s[30:31]
	s_lshr_b64 s[26:27], s[22:23], 26
	s_and_b32 s22, s22, 0x3ffffff
	s_mov_b32 s23, s85
	s_add_nc_u64 s[20:21], s[20:21], s[26:27]
	s_mul_u64 s[26:27], s[22:23], 0x3d10
	s_lshl_b64 s[22:23], s[22:23], 10
	s_add_nc_u64 s[4:5], s[4:5], s[26:27]
	s_lshr_b64 s[26:27], s[34:35], 26
	s_add_nc_u64 s[18:19], s[18:19], s[74:75]
	s_add_nc_u64 s[4:5], s[4:5], s[26:27]
	s_lshr_b64 s[26:27], s[20:21], 26
	s_and_b32 s20, s20, 0x3ffffff
	s_mov_b32 s21, s85
	s_add_nc_u64 s[22:23], s[54:55], s[22:23]
	s_add_nc_u64 s[2:3], s[2:3], s[26:27]
	s_mul_u64 s[26:27], s[20:21], 0x3d10
	s_lshl_b64 s[20:21], s[20:21], 10
	s_add_nc_u64 s[22:23], s[22:23], s[26:27]
	s_add_nc_u64 s[18:19], s[18:19], s[20:21]
	s_lshr_b64 s[20:21], s[4:5], 26
	s_add_nc_u64 s[28:29], s[28:29], s[76:77]
	s_add_nc_u64 s[22:23], s[22:23], s[20:21]
	s_lshr_b64 s[20:21], s[2:3], 26
	s_and_b32 s92, s34, 0x3ffffff
	s_add_nc_u64 s[26:27], s[0:1], s[20:21]
	s_and_b32 s0, s2, 0x3ffffff
	s_mov_b32 s1, s85
	s_and_b32 s58, s4, 0x3ffffff
	s_mul_u64 s[2:3], s[0:1], 0x3d10
	s_lshl_b64 s[0:1], s[0:1], 10
	s_add_nc_u64 s[30:31], s[18:19], s[2:3]
	s_add_nc_u64 s[28:29], s[28:29], s[0:1]
	v_readlane_b32 s2, v19, 28
	v_readlane_b32 s0, v18, 8
	;; [unrolled: 1-line block ×4, first 2 shown]
	s_mov_b32 s3, s85
	s_mov_b32 s1, s85
	;; [unrolled: 1-line block ×3, first 2 shown]
	s_mul_u64 s[4:5], s[92:93], s[0:1]
	s_mul_u64 s[18:19], s[58:59], s[2:3]
	v_readlane_b32 s80, v17, 0
	s_add_nc_u64 s[34:35], s[18:19], s[4:5]
	v_readlane_b32 s4, v19, 26
	v_readlane_b32 s5, v19, 27
	s_mov_b32 s5, s85
	v_readlane_b32 s78, v17, 6
	v_readlane_b32 s81, v17, 1
	v_readlane_b32 s79, v17, 7
	s_mul_u64 s[18:19], s[92:93], s[4:5]
	s_mul_u64 s[20:21], s[58:59], s[0:1]
	s_mov_b32 s81, s85
	s_add_nc_u64 s[20:21], s[20:21], s[18:19]
	s_mul_u64 s[18:19], s[92:93], s[80:81]
	s_mul_u64 s[36:37], s[58:59], s[4:5]
	s_mov_b32 s63, s85
	s_add_nc_u64 s[40:41], s[36:37], s[18:19]
	s_mul_u64 s[18:19], s[92:93], s[78:79]
	s_mul_u64 s[36:37], s[58:59], s[80:81]
	s_and_b32 s12, s12, 0x3ffffff
	s_add_nc_u64 s[48:49], s[36:37], s[18:19]
	s_mul_u64 s[18:19], s[92:93], s[86:87]
	s_mul_u64 s[36:37], s[58:59], s[100:101]
	s_mov_b32 s13, s85
	s_add_nc_u64 s[52:53], s[36:37], s[18:19]
	s_mul_u64 s[18:19], s[92:93], s[98:99]
	s_mul_u64 s[36:37], s[58:59], s[86:87]
	s_mov_b32 s65, s85
	s_add_nc_u64 s[54:55], s[36:37], s[18:19]
	v_readlane_b32 s36, v19, 30
	v_readlane_b32 s37, v19, 31
	s_mov_b32 s37, s85
	s_mul_u64 s[18:19], s[92:93], s[2:3]
	s_mov_b32 s83, s85
	s_mul_u64 s[38:39], s[58:59], s[36:37]
	s_and_b32 s6, s6, 0x3ffffff
	s_add_nc_u64 s[38:39], s[38:39], s[18:19]
	s_lshr_b64 s[18:19], s[22:23], 26
	s_mov_b32 s7, s85
	s_add_nc_u64 s[18:19], s[30:31], s[18:19]
	s_lshr_b64 s[30:31], s[26:27], 26
	s_and_b32 s26, s26, 0x3ffffff
	s_mov_b32 s27, s85
	s_add_nc_u64 s[16:17], s[30:31], s[16:17]
	s_mul_u64 s[30:31], s[26:27], 0x3d10
	s_lshl_b64 s[26:27], s[26:27], 10
	s_add_nc_u64 s[28:29], s[28:29], s[30:31]
	s_add_nc_u64 s[26:27], s[14:15], s[26:27]
	s_and_b32 s14, s22, 0x3ffffff
	s_mov_b32 s15, s85
	s_and_b32 s62, s18, 0x3ffffff
	s_mul_u64 s[22:23], s[14:15], s[36:37]
	s_mul_u64 s[30:31], s[14:15], s[2:3]
	s_add_nc_u64 s[22:23], s[34:35], s[22:23]
	s_add_nc_u64 s[20:21], s[20:21], s[30:31]
	s_mul_u64 s[30:31], s[14:15], s[0:1]
	s_mul_u64 s[34:35], s[14:15], s[4:5]
	s_add_nc_u64 s[30:31], s[40:41], s[30:31]
	s_add_nc_u64 s[34:35], s[48:49], s[34:35]
	s_mul_u64 s[40:41], s[58:59], s[78:79]
	s_mul_u64 s[48:49], s[14:15], s[80:81]
	s_and_b32 s10, s10, 0x3ffffff
	s_add_nc_u64 s[40:41], s[48:49], s[40:41]
	s_mul_u64 s[48:49], s[14:15], s[100:101]
	s_mov_b32 s11, s85
	s_add_nc_u64 s[48:49], s[54:55], s[48:49]
	s_lshr_b64 s[54:55], s[18:19], 26
	s_mul_u64 s[18:19], s[62:63], s[36:37]
	s_add_nc_u64 s[28:29], s[28:29], s[54:55]
	s_mov_b32 s55, s85
	s_and_b32 s54, s16, 0x3ffffff
	s_add_nc_u64 s[20:21], s[20:21], s[18:19]
	s_mul_u64 s[18:19], s[62:63], s[2:3]
	s_mul_u64 s[60:61], s[54:55], 0x3d10
	s_lshr_b64 s[16:17], s[16:17], 26
	s_add_nc_u64 s[18:19], s[30:31], s[18:19]
	s_mul_u64 s[30:31], s[62:63], s[0:1]
	s_add_nc_u64 s[26:27], s[26:27], s[60:61]
	s_mul_u64 s[60:61], s[16:17], 0x3d10
	s_add_nc_u64 s[30:31], s[34:35], s[30:31]
	s_mul_u64 s[34:35], s[62:63], s[4:5]
	s_add_nc_u64 s[12:13], s[60:61], s[12:13]
	s_add_nc_u64 s[34:35], s[40:41], s[34:35]
	s_mul_u64 s[40:41], s[14:15], s[78:79]
	s_mul_u64 s[60:61], s[62:63], s[80:81]
	s_and_b32 s64, s28, 0x3ffffff
	s_add_nc_u64 s[40:41], s[60:61], s[40:41]
	s_lshr_b64 s[60:61], s[28:29], 26
	s_mul_u64 s[28:29], s[64:65], s[0:1]
	s_add_nc_u64 s[60:61], s[26:27], s[60:61]
	s_lshl_b64 s[26:27], s[54:55], 10
	s_add_nc_u64 s[28:29], s[34:35], s[28:29]
	s_add_nc_u64 s[12:13], s[12:13], s[26:27]
	s_mul_u64 s[26:27], s[64:65], s[36:37]
	s_mul_u64 s[34:35], s[62:63], s[78:79]
	s_add_nc_u64 s[26:27], s[18:19], s[26:27]
	s_mul_u64 s[18:19], s[64:65], s[2:3]
	s_and_b32 s82, s60, 0x3ffffff
	s_add_nc_u64 s[18:19], s[30:31], s[18:19]
	s_mul_u64 s[30:31], s[64:65], s[4:5]
	s_mul_u64 s[54:55], s[82:83], s[80:81]
	s_add_nc_u64 s[30:31], s[40:41], s[30:31]
	s_mul_u64 s[40:41], s[64:65], s[80:81]
	s_lshl_b64 s[16:17], s[16:17], 14
	s_add_nc_u64 s[34:35], s[40:41], s[34:35]
	s_lshr_b64 s[40:41], s[60:61], 26
	s_and_b32 s8, s8, 0x3ffffff
	s_add_nc_u64 s[12:13], s[12:13], s[40:41]
	s_mul_u64 s[40:41], s[82:83], s[36:37]
	s_and_b32 s88, s12, 0x3fffff
	s_add_nc_u64 s[18:19], s[18:19], s[40:41]
	s_mul_u64 s[40:41], s[82:83], s[2:3]
	s_mov_b32 s9, s85
	s_add_nc_u64 s[28:29], s[28:29], s[40:41]
	s_mul_u64 s[40:41], s[82:83], s[0:1]
	s_delay_alu instid0(SALU_CYCLE_1) | instskip(SKIP_1) | instid1(SALU_CYCLE_1)
	s_add_nc_u64 s[40:41], s[30:31], s[40:41]
	s_mul_u64 s[30:31], s[82:83], s[4:5]
	s_add_nc_u64 s[34:35], s[34:35], s[30:31]
	s_mul_u64 s[30:31], s[64:65], s[78:79]
	s_delay_alu instid0(SALU_CYCLE_1)
	s_add_nc_u64 s[54:55], s[54:55], s[30:31]
	s_lshr_b64 s[30:31], s[12:13], 22
	s_mul_u64 s[12:13], s[88:89], s[36:37]
	s_add_nc_u64 s[68:69], s[30:31], s[16:17]
	s_add_nc_u64 s[30:31], s[28:29], s[12:13]
	s_mul_u64 s[12:13], s[88:89], s[2:3]
	s_mul_u64 s[28:29], s[88:89], s[80:81]
	s_add_nc_u64 s[66:67], s[40:41], s[12:13]
	s_mul_u64 s[12:13], s[88:89], s[0:1]
	s_delay_alu instid0(SALU_CYCLE_1) | instskip(SKIP_1) | instid1(SALU_CYCLE_1)
	s_add_nc_u64 s[60:61], s[34:35], s[12:13]
	s_mul_u64 s[12:13], s[88:89], s[4:5]
	s_add_nc_u64 s[16:17], s[54:55], s[12:13]
	s_mul_u64 s[12:13], s[82:83], s[78:79]
	s_lshr_b64 s[54:55], s[56:57], 26
	s_add_nc_u64 s[12:13], s[28:29], s[12:13]
	s_mul_u64 s[28:29], s[68:69], 0x3d1
	s_mul_u64 s[56:57], s[54:55], 0x3d10
	s_add_nc_u64 s[6:7], s[28:29], s[6:7]
	s_lshl_b64 s[28:29], s[68:69], 6
	s_and_b32 s90, s6, 0x3ffffff
	s_add_nc_u64 s[10:11], s[28:29], s[10:11]
	s_lshr_b64 s[28:29], s[6:7], 26
	s_mul_u64 s[6:7], s[90:91], s[36:37]
	s_add_nc_u64 s[10:11], s[10:11], s[28:29]
	s_mul_u64 s[28:29], s[90:91], s[2:3]
	s_lshr_b64 s[34:35], s[10:11], 26
	s_and_b32 s96, s10, 0x3ffffff
	s_add_nc_u64 s[94:95], s[34:35], s[8:9]
	s_mul_u64 s[8:9], s[90:91], s[86:87]
	s_mul_u64 s[10:11], s[96:97], s[100:101]
	s_add_nc_u64 s[28:29], s[48:49], s[28:29]
	s_add_nc_u64 s[40:41], s[10:11], s[8:9]
	s_mul_u64 s[8:9], s[90:91], s[98:99]
	s_mul_u64 s[10:11], s[96:97], s[86:87]
	s_add_nc_u64 s[6:7], s[52:53], s[6:7]
	s_add_nc_u64 s[8:9], s[10:11], s[8:9]
	s_mul_u64 s[10:11], s[96:97], s[36:37]
	v_readlane_b32 s52, v18, 0
	s_add_nc_u64 s[10:11], s[28:29], s[10:11]
	s_mul_u64 s[28:29], s[94:95], s[100:101]
	v_readlane_b32 s53, v18, 1
	s_add_nc_u64 s[34:35], s[8:9], s[28:29]
	v_readlane_b32 s28, v15, 2
	v_readlane_b32 s29, v15, 3
	;; [unrolled: 1-line block ×4, first 2 shown]
	s_mov_b32 s9, s85
	s_mov_b32 s53, s85
	s_lshr_b64 s[48:49], s[28:29], 26
	s_and_b32 s8, s8, 0x3ffffff
	s_mul_u64 s[28:29], s[48:49], 0x3d10
	s_lshl_b64 s[54:55], s[54:55], 14
	s_add_nc_u64 s[8:9], s[28:29], s[8:9]
	v_readlane_b32 s28, v16, 28
	v_readlane_b32 s29, v16, 29
	s_add_nc_u64 s[8:9], s[8:9], s[28:29]
	s_lshr_b64 s[28:29], s[50:51], 26
	s_delay_alu instid0(SALU_CYCLE_1) | instskip(SKIP_2) | instid1(SALU_CYCLE_1)
	s_add_nc_u64 s[28:29], s[8:9], s[28:29]
	s_lshl_b64 s[8:9], s[48:49], 14
	s_lshr_b64 s[48:49], s[28:29], 22
	s_add_nc_u64 s[8:9], s[48:49], s[8:9]
	v_readlane_b32 s48, v17, 22
	v_readlane_b32 s49, v17, 23
	s_mov_b32 s49, s85
	s_mul_u64 s[50:51], s[8:9], 0x3d1
	s_lshl_b64 s[8:9], s[8:9], 6
	s_and_b32 s48, s48, 0x3ffffff
	s_delay_alu instid0(SALU_CYCLE_1) | instskip(SKIP_4) | instid1(SALU_CYCLE_1)
	s_add_nc_u64 s[50:51], s[50:51], s[48:49]
	v_readlane_b32 s48, v16, 18
	v_readlane_b32 s49, v16, 19
	s_mov_b32 s49, s85
	s_and_b32 s48, s48, 0x3ffffff
	s_add_nc_u64 s[8:9], s[8:9], s[48:49]
	s_lshr_b64 s[48:49], s[50:51], 26
	s_delay_alu instid0(SALU_CYCLE_1)
	s_add_nc_u64 s[68:69], s[8:9], s[48:49]
	v_readlane_b32 s8, v16, 20
	v_readlane_b32 s9, v16, 21
	s_and_b32 s49, s68, 0x3ffffff
	s_and_b32 s29, s8, 0x3ffffff
	s_lshr_b64 s[8:9], s[68:69], 26
	s_delay_alu instid0(SALU_CYCLE_1)
	s_add_co_i32 s48, s8, s29
	s_lshl_b64 s[8:9], s[84:85], 10
	s_mov_b32 s84, s52
	s_and_b32 s52, s24, 0x3ffffff
	s_mul_u64 s[74:75], s[92:93], s[84:85]
	s_add_nc_u64 s[52:53], s[56:57], s[52:53]
	s_mul_u64 s[76:77], s[58:59], s[84:85]
	s_add_nc_u64 s[56:57], s[52:53], s[8:9]
	;; [unrolled: 2-line block ×3, first 2 shown]
	s_add_nc_u64 s[8:9], s[22:23], s[8:9]
	s_mul_u64 s[22:23], s[64:65], s[84:85]
	s_mul_u64 s[44:45], s[82:83], s[86:87]
	s_add_nc_u64 s[20:21], s[20:21], s[22:23]
	s_mul_u64 s[22:23], s[82:83], s[84:85]
	s_delay_alu instid0(SALU_CYCLE_1) | instskip(SKIP_1) | instid1(SALU_CYCLE_1)
	s_add_nc_u64 s[22:23], s[26:27], s[22:23]
	s_mul_u64 s[26:27], s[88:89], s[84:85]
	s_add_nc_u64 s[52:53], s[18:19], s[26:27]
	s_mul_u64 s[18:19], s[92:93], s[100:101]
	s_mul_u64 s[26:27], s[90:91], s[84:85]
	s_delay_alu instid0(SALU_CYCLE_1) | instskip(SKIP_1) | instid1(SALU_CYCLE_1)
	s_add_nc_u64 s[18:19], s[26:27], s[18:19]
	s_mul_u64 s[26:27], s[96:97], s[84:85]
	s_add_nc_u64 s[26:27], s[6:7], s[26:27]
	s_mul_u64 s[6:7], s[94:95], s[84:85]
	s_delay_alu instid0(SALU_CYCLE_1) | instskip(SKIP_1) | instid1(SALU_CYCLE_1)
	s_add_nc_u64 s[6:7], s[10:11], s[6:7]
	s_mul_u64 s[10:11], s[58:59], s[98:99]
	s_add_nc_u64 s[10:11], s[10:11], s[74:75]
	s_mul_u64 s[74:75], s[92:93], s[36:37]
	s_mul_u64 s[36:37], s[94:95], s[36:37]
	s_add_nc_u64 s[74:75], s[76:77], s[74:75]
	s_mul_u64 s[76:77], s[14:15], s[84:85]
	s_delay_alu instid0(SALU_CYCLE_1) | instskip(SKIP_1) | instid1(SALU_CYCLE_1)
	s_add_nc_u64 s[38:39], s[38:39], s[76:77]
	s_mul_u64 s[76:77], s[64:65], s[98:99]
	s_add_nc_u64 s[76:77], s[8:9], s[76:77]
	s_mul_u64 s[8:9], s[82:83], s[98:99]
	s_delay_alu instid0(SALU_CYCLE_1) | instskip(SKIP_1) | instid1(SALU_CYCLE_1)
	s_add_nc_u64 s[20:21], s[20:21], s[8:9]
	;; [unrolled: 5-line block ×3, first 2 shown]
	s_mul_u64 s[8:9], s[94:95], s[98:99]
	s_add_nc_u64 s[8:9], s[26:27], s[8:9]
	s_mul_u64 s[26:27], s[14:15], s[86:87]
	s_delay_alu instid0(SALU_CYCLE_1)
	s_add_nc_u64 s[10:11], s[10:11], s[26:27]
	s_mul_u64 s[26:27], s[14:15], s[98:99]
	v_readlane_b32 s15, v16, 14
	s_add_nc_u64 s[26:27], s[74:75], s[26:27]
	s_mul_u64 s[74:75], s[62:63], s[98:99]
	s_mov_b32 s98, s58
	s_add_nc_u64 s[38:39], s[38:39], s[74:75]
	s_add_nc_u64 s[74:75], s[76:77], s[44:45]
	s_mul_u64 s[44:45], s[88:89], s[86:87]
	s_mov_b32 s58, s64
	s_add_nc_u64 s[76:77], s[20:21], s[44:45]
	s_mul_u64 s[20:21], s[94:95], s[78:79]
	s_delay_alu instid0(SALU_CYCLE_1)
	s_add_nc_u64 s[44:45], s[22:23], s[20:21]
	s_mul_u64 s[20:21], s[94:95], s[86:87]
	s_mul_u64 s[22:23], s[64:65], s[86:87]
	s_add_nc_u64 s[20:21], s[18:19], s[20:21]
	s_mul_u64 s[18:19], s[62:63], s[100:101]
	s_add_nc_u64 s[22:23], s[38:39], s[22:23]
	s_add_nc_u64 s[10:11], s[10:11], s[18:19]
	s_mul_u64 s[18:19], s[62:63], s[86:87]
	s_mul_u64 s[38:39], s[96:97], s[78:79]
	s_add_nc_u64 s[18:19], s[26:27], s[18:19]
	s_mul_u64 s[26:27], s[88:89], s[100:101]
	s_add_nc_u64 s[38:39], s[76:77], s[38:39]
	s_add_nc_u64 s[26:27], s[74:75], s[26:27]
	s_mul_u64 s[74:75], s[90:91], s[0:1]
	s_add_co_i32 s86, s33, 0x1fffff8
	s_add_nc_u64 s[10:11], s[10:11], s[74:75]
	s_mul_u64 s[74:75], s[64:65], s[100:101]
	s_delay_alu instid0(SALU_CYCLE_1) | instskip(SKIP_1) | instid1(SALU_CYCLE_1)
	s_add_nc_u64 s[18:19], s[18:19], s[74:75]
	s_mul_u64 s[74:75], s[82:83], s[100:101]
	s_add_nc_u64 s[22:23], s[22:23], s[74:75]
	s_lshr_b64 s[74:75], s[56:57], 22
	s_delay_alu instid0(SALU_CYCLE_1) | instskip(SKIP_1) | instid1(SALU_CYCLE_1)
	s_add_nc_u64 s[54:55], s[74:75], s[54:55]
	s_mul_u64 s[74:75], s[90:91], s[78:79]
	s_add_nc_u64 s[26:27], s[26:27], s[74:75]
	s_mul_u64 s[74:75], s[94:95], s[80:81]
	s_delay_alu instid0(SALU_CYCLE_1)
	s_add_nc_u64 s[74:75], s[38:39], s[74:75]
	s_mul_u64 s[38:39], s[96:97], s[2:3]
	s_mul_u64 s[2:3], s[94:95], s[2:3]
	s_add_nc_u64 s[10:11], s[10:11], s[38:39]
	s_mul_u64 s[38:39], s[90:91], s[4:5]
	s_add_nc_u64 s[10:11], s[10:11], s[36:37]
	s_add_nc_u64 s[18:19], s[18:19], s[38:39]
	s_mul_u64 s[38:39], s[90:91], s[80:81]
	s_mul_u64 s[36:37], s[96:97], s[0:1]
	s_add_nc_u64 s[22:23], s[22:23], s[38:39]
	s_mul_u64 s[38:39], s[96:97], s[80:81]
	s_add_nc_u64 s[18:19], s[18:19], s[36:37]
	s_add_nc_u64 s[26:27], s[26:27], s[38:39]
	s_mul_u64 s[36:37], s[96:97], s[4:5]
	s_mul_u64 s[4:5], s[94:95], s[4:5]
	s_add_nc_u64 s[36:37], s[22:23], s[36:37]
	s_add_nc_u64 s[4:5], s[26:27], s[4:5]
	s_add_co_i32 s27, s15, 0x1ffffff8
	v_readlane_b32 s15, v16, 8
	v_readlane_b32 s22, v16, 24
	;; [unrolled: 1-line block ×3, first 2 shown]
	s_mov_b32 s23, s85
	s_mul_u64 s[38:39], s[54:55], 0x3d1
	s_add_co_i32 s26, s15, 0x1ffffff8
	v_readlane_b32 s15, v16, 16
	s_and_b32 s22, s22, 0x3ffffff
	s_add_nc_u64 s[2:3], s[18:19], s[2:3]
	s_add_nc_u64 s[76:77], s[38:39], s[22:23]
	s_and_b32 s22, s46, 0x3ffffff
	s_lshl_b64 s[38:39], s[54:55], 6
	v_readlane_b32 s18, v17, 14
	s_add_nc_u64 s[54:55], s[38:39], s[22:23]
	s_add_co_i32 s23, s15, 0x1ffffff8
	v_readlane_b32 s15, v16, 6
	v_readlane_b32 s19, v17, 15
	s_and_b32 s46, s50, 0x3ffffff
	s_mul_u64 s[0:1], s[94:95], s[0:1]
	s_add_co_i32 s39, s104, 0x1ffffff8
	s_add_co_i32 s22, s15, 0x1ffffff8
	v_readlane_b32 s15, v17, 12
	s_add_co_i32 s38, s15, 0x1ffffdf8
	s_and_b32 s15, s18, 0x3ffffff
	v_readlane_b32 s18, v16, 22
	v_readlane_b32 s19, v16, 23
	s_and_b32 s19, s28, 0x3fffff
	v_readlane_b32 s28, v16, 10
	v_readlane_b32 s29, v16, 11
	s_and_b32 s18, s18, 0x3ffffff
	s_and_b32 s50, s28, 0x3ffffff
	v_readlane_b32 s28, v16, 2
	v_readlane_b32 s29, v16, 3
	s_add_co_i32 s29, s25, 0xffffffc
	s_add_co_i32 s25, s70, 0xffffffc
	s_and_b32 s24, s28, 0x3ffffff
	s_add_co_i32 s28, s47, 0xffffffc
	s_sub_co_i32 s57, s24, s15
	s_and_b32 s15, s42, 0x3ffffff
	s_add_co_i32 s24, s43, 0xffffffc
	s_sub_co_i32 s59, s15, s18
	s_and_b32 s15, s56, 0x3fffff
	s_mov_b32 s47, s85
	s_sub_co_i32 s56, s15, s19
	s_add_nc_u64 s[18:19], s[36:37], s[0:1]
	s_lshr_b64 s[0:1], s[76:77], 26
	s_add_co_i32 s81, s56, 0xfffffc
	s_add_nc_u64 s[36:37], s[54:55], s[0:1]
	s_and_b32 s0, s4, 0x3ffffff
	s_lshr_b64 s[4:5], s[4:5], 26
	s_mul_u64 s[54:55], s[88:89], s[78:79]
	s_add_nc_u64 s[42:43], s[74:75], s[4:5]
	s_and_b32 s4, s76, 0x3ffffff
	s_mov_b32 s1, s85
	s_sub_co_i32 s63, s4, s46
	s_lshr_b64 s[4:5], s[36:37], 26
	s_and_b32 s46, s42, 0x3ffffff
	s_lshr_b64 s[42:43], s[42:43], 26
	s_add_co_i32 s65, s4, s50
	s_add_nc_u64 s[42:43], s[44:45], s[42:43]
	s_mul_u64 s[50:51], s[90:91], s[100:101]
	s_and_b32 s4, s36, 0x3ffffff
	s_mul_u64 s[36:37], s[46:47], 0x3d10
	s_lshl_b64 s[46:47], s[46:47], 10
	s_add_nc_u64 s[50:51], s[36:37], s[50:51]
	s_and_b32 s44, s42, 0x3ffffff
	s_lshr_b64 s[42:43], s[42:43], 26
	s_mov_b32 s45, s85
	s_sub_co_i32 s68, s4, s49
	s_add_nc_u64 s[40:41], s[40:41], s[46:47]
	s_add_nc_u64 s[42:43], s[52:53], s[42:43]
	s_and_b32 s4, s50, 0x3ffffff
	s_lshr_b64 s[50:51], s[50:51], 26
	s_mov_b32 s47, s85
	s_add_nc_u64 s[50:51], s[40:41], s[50:51]
	s_lshl_b64 s[40:41], s[44:45], 10
	s_and_b32 s46, s42, 0x3ffffff
	s_lshr_b64 s[42:43], s[42:43], 26
	s_add_nc_u64 s[34:35], s[34:35], s[40:41]
	s_mul_u64 s[44:45], s[44:45], 0x3d10
	s_add_nc_u64 s[42:43], s[30:31], s[42:43]
	s_mul_u64 s[30:31], s[46:47], 0x3d10
	s_add_nc_u64 s[44:45], s[50:51], s[44:45]
	s_add_nc_u64 s[30:31], s[34:35], s[30:31]
	s_lshl_b64 s[34:35], s[46:47], 10
	s_and_b32 s36, s44, 0x3ffffff
	s_add_nc_u64 s[20:21], s[20:21], s[34:35]
	s_lshr_b64 s[34:35], s[44:45], 26
	s_mov_b32 s100, s14
	s_add_nc_u64 s[44:45], s[30:31], s[34:35]
	v_readlane_b32 s30, v18, 12
	v_readlane_b32 s31, v18, 13
	;; [unrolled: 1-line block ×3, first 2 shown]
	s_mov_b32 s41, s85
	s_and_b32 s40, s42, 0x3ffffff
	s_lshr_b64 s[42:43], s[42:43], 26
	s_add_nc_u64 s[30:31], s[30:31], 64
	s_add_co_i32 s64, s14, 0x1ffffff8
	v_writelane_b32 v18, s30, 12
	s_sub_co_i32 s14, s65, s48
	s_add_co_i32 s35, s57, 0xffffffc
	s_add_nc_u64 s[42:43], s[66:67], s[42:43]
	s_mul_u64 s[56:57], s[40:41], 0x3d10
	s_mov_b32 s49, s85
	s_add_co_i32 s34, s14, 0xffffffc
	s_lshl_b64 s[40:41], s[40:41], 10
	s_and_b32 s14, s44, 0x3ffffff
	s_lshr_b64 s[44:45], s[44:45], 26
	s_add_nc_u64 s[20:21], s[20:21], s[56:57]
	s_and_b32 s48, s42, 0x3ffffff
	s_lshr_b64 s[42:43], s[42:43], 26
	s_add_nc_u64 s[8:9], s[8:9], s[40:41]
	s_add_nc_u64 s[20:21], s[20:21], s[44:45]
	s_mul_u64 s[40:41], s[48:49], 0x3d10
	s_add_nc_u64 s[42:43], s[60:61], s[42:43]
	v_writelane_b32 v18, s31, 13
	v_readlane_b32 s31, v17, 16
	s_mov_b32 s51, s85
	s_lshl_b64 s[44:45], s[48:49], 10
	s_and_b32 s60, s20, 0x3ffffff
	s_lshr_b64 s[20:21], s[20:21], 26
	s_add_nc_u64 s[8:9], s[8:9], s[40:41]
	s_and_b32 s50, s42, 0x3ffffff
	s_lshr_b64 s[40:41], s[42:43], 26
	s_add_nc_u64 s[6:7], s[6:7], s[44:45]
	s_add_nc_u64 s[8:9], s[8:9], s[20:21]
	s_mul_u64 s[20:21], s[50:51], 0x3d10
	s_add_nc_u64 s[16:17], s[16:17], s[40:41]
	s_add_co_i32 s69, s31, 0x1fffe178
	s_add_co_i32 s31, s68, 0xffffefc
	s_lshl_b64 s[42:43], s[50:51], 10
	s_and_b32 s68, s8, 0x3ffffff
	s_lshr_b64 s[8:9], s[8:9], 26
	s_add_nc_u64 s[6:7], s[6:7], s[20:21]
	s_and_b32 s46, s16, 0x3ffffff
	s_lshr_b64 s[16:17], s[16:17], 26
	s_add_nc_u64 s[10:11], s[10:11], s[42:43]
	s_add_nc_u64 s[6:7], s[6:7], s[8:9]
	s_mul_u64 s[8:9], s[46:47], 0x3d10
	s_add_nc_u64 s[12:13], s[12:13], s[16:17]
	s_mov_b32 s53, s85
	s_lshl_b64 s[20:21], s[46:47], 10
	s_and_b32 s72, s6, 0x3ffffff
	s_lshr_b64 s[6:7], s[6:7], 26
	s_add_nc_u64 s[8:9], s[10:11], s[8:9]
	s_and_b32 s52, s12, 0x3ffffff
	s_lshr_b64 s[10:11], s[12:13], 26
	s_add_nc_u64 s[2:3], s[2:3], s[20:21]
	s_add_nc_u64 s[6:7], s[8:9], s[6:7]
	s_mul_u64 s[8:9], s[52:53], 0x3d10
	s_add_nc_u64 s[10:11], s[10:11], s[54:55]
	s_lshl_b64 s[12:13], s[52:53], 10
	s_and_b32 s74, s6, 0x3ffffff
	s_lshr_b64 s[6:7], s[6:7], 26
	s_add_nc_u64 s[2:3], s[2:3], s[8:9]
	s_and_b32 s84, s10, 0x3ffffff
	s_lshr_b64 s[8:9], s[10:11], 26
	s_add_nc_u64 s[10:11], s[18:19], s[12:13]
	s_add_nc_u64 s[2:3], s[2:3], s[6:7]
	s_mul_u64 s[6:7], s[84:85], 0x3d10
	s_mul_u64 s[16:17], s[8:9], 0x3d10
	s_and_b32 s70, s2, 0x3ffffff
	s_lshr_b64 s[2:3], s[2:3], 26
	s_add_nc_u64 s[6:7], s[10:11], s[6:7]
	s_lshl_b64 s[12:13], s[84:85], 10
	s_add_nc_u64 s[0:1], s[16:17], s[0:1]
	s_add_nc_u64 s[2:3], s[6:7], s[2:3]
	;; [unrolled: 1-line block ×3, first 2 shown]
	s_lshr_b64 s[6:7], s[2:3], 26
	s_lshl_b64 s[8:9], s[8:9], 14
	s_add_nc_u64 s[0:1], s[0:1], s[6:7]
	s_mov_b32 s5, s85
	s_lshr_b64 s[6:7], s[0:1], 22
	s_and_b32 s84, s0, 0x3fffff
	s_add_nc_u64 s[0:1], s[6:7], s[8:9]
	s_mov_b32 s37, s85
	s_mul_u64 s[6:7], s[0:1], 0x3d1
	s_lshl_b64 s[0:1], s[0:1], 6
	s_add_nc_u64 s[4:5], s[6:7], s[4:5]
	v_readlane_b32 s30, v17, 18
	s_add_nc_u64 s[0:1], s[0:1], s[36:37]
	s_lshr_b64 s[6:7], s[4:5], 26
	s_and_b32 s76, s4, 0x3ffffff
	v_readlane_b32 s4, v18, 12
	s_add_nc_u64 s[0:1], s[0:1], s[6:7]
	v_readlane_b32 s5, v18, 13
	s_mov_b32 s15, s85
	s_and_b32 s66, s0, 0x3ffffff
	s_lshr_b64 s[0:1], s[0:1], 26
	s_add_co_i32 s30, s30, 0x1ffffff8
	s_add_co_i32 s33, s59, 0xffffffc
	;; [unrolled: 1-line block ×3, first 2 shown]
	s_and_b32 s40, s2, 0x3ffffff
	s_mov_b64 s[8:9], s[84:85]
	s_cmp_eq_u32 s4, 0x7fc0
	s_add_nc_u64 s[46:47], s[0:1], s[14:15]
	s_cbranch_scc0 .LBB0_1
; %bb.2:
	s_mov_b32 s19, 0
	s_and_b64 s[62:63], s[2:3], 0x3ffffff
	s_lshl_b32 s12, s60, 1
	s_mov_b32 s13, s19
	s_mov_b32 s75, s19
	s_lshl_b32 s2, s68, 1
	s_mov_b32 s3, s19
	s_mov_b32 s73, s19
	s_lshl_b32 s10, s46, 1
	s_mov_b32 s11, s19
	s_mov_b32 s71, s19
	s_mul_u64 s[4:5], s[74:75], s[12:13]
	s_mul_u64 s[6:7], s[72:73], s[2:3]
	s_lshl_b32 s0, s66, 1
	s_mov_b32 s1, s19
	s_mul_u64 s[8:9], s[10:11], s[70:71]
	s_add_nc_u64 s[4:5], s[4:5], s[6:7]
	s_lshl_b32 s18, s76, 1
	s_mul_u64 s[6:7], s[62:63], s[0:1]
	s_add_nc_u64 s[4:5], s[4:5], s[8:9]
	s_mul_u64 s[8:9], s[84:85], s[18:19]
	s_add_nc_u64 s[4:5], s[4:5], s[6:7]
	;; [unrolled: 2-line block ×3, first 2 shown]
	s_mul_u64 s[8:9], s[72:73], s[72:73]
	s_mul_u64 s[14:15], s[70:71], s[12:13]
	s_add_nc_u64 s[6:7], s[6:7], s[8:9]
	s_mul_u64 s[8:9], s[10:11], s[62:63]
	s_add_nc_u64 s[6:7], s[6:7], s[14:15]
	;; [unrolled: 2-line block ×3, first 2 shown]
	s_lshr_b64 s[8:9], s[4:5], 26
	s_add_nc_u64 s[6:7], s[6:7], s[14:15]
	s_and_b32 s16, s4, 0x3ffffff
	s_add_nc_u64 s[4:5], s[6:7], s[8:9]
	s_mul_u64 s[22:23], s[70:71], s[2:3]
	s_and_b32 s6, s4, 0x3ffffff
	s_lshr_b64 s[20:21], s[4:5], 26
	s_lshl_b32 s4, s72, 1
	s_mov_b32 s5, s19
	s_mul_u64 s[26:27], s[62:63], s[12:13]
	s_mul_u64 s[24:25], s[74:75], s[4:5]
	s_mov_b32 s77, s19
	s_add_nc_u64 s[22:23], s[22:23], s[24:25]
	s_mov_b32 s7, s19
	s_mul_u64 s[24:25], s[10:11], s[84:85]
	s_add_nc_u64 s[22:23], s[22:23], s[26:27]
	s_mul_u64 s[8:9], s[76:77], s[76:77]
	s_mul_u64 s[14:15], s[6:7], 0x3d10
	s_add_nc_u64 s[22:23], s[22:23], s[24:25]
	s_mov_b32 s67, s19
	s_add_nc_u64 s[8:9], s[14:15], s[8:9]
	s_lshl_b64 s[6:7], s[6:7], 10
	s_add_nc_u64 s[20:21], s[22:23], s[20:21]
	s_mul_u64 s[22:23], s[66:67], s[18:19]
	s_and_b32 s14, s8, 0x3ffffff
	s_lshr_b64 s[8:9], s[8:9], 26
	s_and_b32 s24, s20, 0x3ffffff
	s_mov_b32 s25, s19
	s_add_nc_u64 s[6:7], s[6:7], s[22:23]
	s_mul_u64 s[22:23], s[24:25], 0x3d10
	s_add_nc_u64 s[6:7], s[6:7], s[8:9]
	s_mul_u64 s[26:27], s[74:75], s[74:75]
	;; [unrolled: 2-line block ×3, first 2 shown]
	s_mul_u64 s[28:29], s[62:63], s[2:3]
	s_add_nc_u64 s[22:23], s[22:23], s[26:27]
	s_mul_u64 s[26:27], s[84:85], s[12:13]
	s_add_nc_u64 s[22:23], s[22:23], s[28:29]
	s_lshr_b64 s[8:9], s[20:21], 26
	s_add_nc_u64 s[22:23], s[22:23], s[26:27]
	s_mul_u64 s[26:27], s[46:47], s[18:19]
	s_add_nc_u64 s[8:9], s[22:23], s[8:9]
	s_mul_u64 s[22:23], s[66:67], s[66:67]
	s_lshl_b64 s[24:25], s[24:25], 10
	s_and_b32 s28, s8, 0x3ffffff
	s_mov_b32 s29, s19
	s_add_nc_u64 s[22:23], s[26:27], s[22:23]
	s_mul_u64 s[26:27], s[28:29], 0x3d10
	s_add_nc_u64 s[22:23], s[22:23], s[24:25]
	s_lshl_b64 s[24:25], s[28:29], 10
	s_add_nc_u64 s[22:23], s[22:23], s[26:27]
	s_lshl_b32 s26, s74, 1
	s_mov_b32 s27, s19
	s_mul_u64 s[28:29], s[62:63], s[4:5]
	s_mul_u64 s[30:31], s[70:71], s[26:27]
	s_mul_u64 s[2:3], s[84:85], s[2:3]
	s_add_nc_u64 s[28:29], s[28:29], s[30:31]
	s_lshr_b64 s[8:9], s[8:9], 26
	s_mov_b32 s61, s19
	s_add_nc_u64 s[2:3], s[28:29], s[2:3]
	s_mul_u64 s[28:29], s[60:61], s[18:19]
	s_add_nc_u64 s[2:3], s[2:3], s[8:9]
	s_mul_u64 s[8:9], s[46:47], s[0:1]
	s_and_b32 s30, s2, 0x3ffffff
	s_mov_b32 s31, s19
	s_add_nc_u64 s[8:9], s[28:29], s[8:9]
	s_and_b32 s20, s6, 0x3ffffff
	s_lshr_b64 s[6:7], s[6:7], 26
	s_mul_u64 s[28:29], s[30:31], 0x3d10
	s_add_nc_u64 s[8:9], s[8:9], s[24:25]
	s_add_nc_u64 s[6:7], s[22:23], s[6:7]
	s_add_nc_u64 s[8:9], s[8:9], s[28:29]
	s_lshl_b64 s[24:25], s[30:31], 10
	s_mul_u64 s[28:29], s[62:63], s[26:27]
	s_mul_u64 s[30:31], s[70:71], s[70:71]
	s_and_b32 s22, s6, 0x3ffffff
	s_lshr_b64 s[6:7], s[6:7], 26
	s_mul_u64 s[4:5], s[84:85], s[4:5]
	s_add_nc_u64 s[28:29], s[28:29], s[30:31]
	s_add_nc_u64 s[6:7], s[8:9], s[6:7]
	s_lshr_b64 s[8:9], s[2:3], 26
	s_add_nc_u64 s[4:5], s[28:29], s[4:5]
	s_mov_b32 s69, s19
	s_mul_u64 s[28:29], s[60:61], s[0:1]
	s_add_nc_u64 s[4:5], s[4:5], s[8:9]
	s_mul_u64 s[8:9], s[46:47], s[46:47]
	s_mul_u64 s[30:31], s[68:69], s[18:19]
	s_add_nc_u64 s[8:9], s[28:29], s[8:9]
	s_and_b32 s34, s4, 0x3ffffff
	s_mov_b32 s35, s19
	s_add_nc_u64 s[8:9], s[8:9], s[30:31]
	s_mul_u64 s[28:29], s[34:35], 0x3d10
	s_add_nc_u64 s[8:9], s[8:9], s[24:25]
	s_and_b32 s2, s6, 0x3ffffff
	s_add_nc_u64 s[8:9], s[8:9], s[28:29]
	s_lshl_b32 s28, s70, 1
	s_mov_b32 s29, s19
	s_lshr_b64 s[6:7], s[6:7], 26
	s_mul_u64 s[26:27], s[84:85], s[26:27]
	s_mul_u64 s[30:31], s[62:63], s[28:29]
	s_add_nc_u64 s[6:7], s[8:9], s[6:7]
	s_lshr_b64 s[8:9], s[4:5], 26
	s_add_nc_u64 s[26:27], s[26:27], s[30:31]
	s_mul_u64 s[30:31], s[68:69], s[0:1]
	s_add_nc_u64 s[8:9], s[26:27], s[8:9]
	s_mul_u64 s[26:27], s[10:11], s[60:61]
	s_lshl_b64 s[24:25], s[34:35], 10
	s_mul_u64 s[34:35], s[72:73], s[18:19]
	s_add_nc_u64 s[26:27], s[30:31], s[26:27]
	s_and_b32 s36, s8, 0x3ffffff
	s_mov_b32 s37, s19
	s_add_nc_u64 s[26:27], s[26:27], s[34:35]
	s_mul_u64 s[30:31], s[36:37], 0x3d10
	s_add_nc_u64 s[24:25], s[26:27], s[24:25]
	s_lshl_b64 s[26:27], s[36:37], 10
	s_mul_u64 s[28:29], s[84:85], s[28:29]
	s_mul_u64 s[36:37], s[62:63], s[62:63]
	s_lshr_b64 s[8:9], s[8:9], 26
	s_mul_u64 s[38:39], s[10:11], s[68:69]
	s_add_nc_u64 s[28:29], s[28:29], s[36:37]
	s_mul_u64 s[36:37], s[60:61], s[60:61]
	s_mul_u64 s[34:35], s[72:73], s[0:1]
	s_add_nc_u64 s[8:9], s[28:29], s[8:9]
	s_add_nc_u64 s[28:29], s[38:39], s[36:37]
	;; [unrolled: 1-line block ×3, first 2 shown]
	s_mul_u64 s[30:31], s[74:75], s[18:19]
	s_add_nc_u64 s[28:29], s[28:29], s[34:35]
	s_and_b32 s4, s6, 0x3ffffff
	s_lshr_b64 s[6:7], s[6:7], 26
	s_and_b32 s36, s8, 0x3ffffff
	s_mov_b32 s37, s19
	s_add_nc_u64 s[28:29], s[28:29], s[30:31]
	s_add_nc_u64 s[24:25], s[24:25], s[6:7]
	s_mul_u64 s[30:31], s[36:37], 0x3d10
	s_add_nc_u64 s[26:27], s[28:29], s[26:27]
	s_and_b32 s6, s24, 0x3ffffff
	s_lshr_b64 s[24:25], s[24:25], 26
	s_add_nc_u64 s[26:27], s[26:27], s[30:31]
	s_lshl_b64 s[28:29], s[36:37], 10
	s_lshl_b32 s36, s40, 1
	s_add_nc_u64 s[24:25], s[26:27], s[24:25]
	s_lshr_b64 s[26:27], s[8:9], 26
	s_mul_u64 s[38:39], s[10:11], s[72:73]
	s_mul_u64 s[36:37], s[84:85], s[36:37]
	;; [unrolled: 1-line block ×4, first 2 shown]
	s_add_nc_u64 s[26:27], s[26:27], s[36:37]
	s_add_nc_u64 s[36:37], s[38:39], s[40:41]
	s_mul_u64 s[30:31], s[70:71], s[18:19]
	s_add_nc_u64 s[34:35], s[36:37], s[34:35]
	s_and_b32 s38, s26, 0x3ffffff
	s_mov_b32 s39, s19
	s_add_nc_u64 s[30:31], s[34:35], s[30:31]
	s_mul_u64 s[34:35], s[38:39], 0x3d10
	s_add_nc_u64 s[28:29], s[30:31], s[28:29]
	s_mul_u64 s[12:13], s[72:73], s[12:13]
	;; [unrolled: 2-line block ×3, first 2 shown]
	s_mul_u64 s[10:11], s[10:11], s[74:75]
	s_add_nc_u64 s[12:13], s[12:13], s[34:35]
	s_lshr_b64 s[26:27], s[26:27], 26
	s_mul_u64 s[0:1], s[70:71], s[0:1]
	s_mul_u64 s[34:35], s[84:85], s[84:85]
	s_add_nc_u64 s[10:11], s[12:13], s[10:11]
	s_and_b32 s8, s24, 0x3ffffff
	s_lshr_b64 s[24:25], s[24:25], 26
	s_mul_u64 s[30:31], s[62:63], s[18:19]
	s_add_nc_u64 s[12:13], s[26:27], s[34:35]
	s_add_nc_u64 s[0:1], s[10:11], s[0:1]
	s_add_nc_u64 s[24:25], s[28:29], s[24:25]
	s_lshl_b64 s[28:29], s[38:39], 10
	s_and_b32 s18, s12, 0x3ffffff
	s_add_nc_u64 s[0:1], s[0:1], s[30:31]
	s_mul_u64 s[10:11], s[18:19], 0x3d10
	s_add_nc_u64 s[0:1], s[0:1], s[28:29]
	s_lshr_b64 s[12:13], s[12:13], 26
	s_mov_b32 s17, s19
	s_lshr_b64 s[26:27], s[24:25], 26
	s_add_nc_u64 s[0:1], s[0:1], s[10:11]
	s_mul_u64 s[10:11], s[12:13], 0x3d10
	s_add_nc_u64 s[0:1], s[0:1], s[26:27]
	s_lshl_b64 s[26:27], s[18:19], 10
	s_add_nc_u64 s[10:11], s[10:11], s[16:17]
	s_lshr_b64 s[16:17], s[0:1], 26
	s_add_nc_u64 s[10:11], s[10:11], s[26:27]
	s_lshl_b64 s[12:13], s[12:13], 14
	s_add_nc_u64 s[16:17], s[10:11], s[16:17]
	s_and_b32 s10, s24, 0x3ffffff
	s_lshr_b64 s[24:25], s[16:17], 22
	s_mov_b32 s15, s19
	s_add_nc_u64 s[24:25], s[24:25], s[12:13]
	s_and_b32 s12, s0, 0x3ffffff
	s_mul_u64 s[0:1], s[24:25], 0x3d1
	s_mov_b32 s21, s19
	s_add_nc_u64 s[0:1], s[0:1], s[14:15]
	s_lshl_b64 s[14:15], s[24:25], 6
	s_lshr_b64 s[24:25], s[0:1], 26
	s_add_nc_u64 s[14:15], s[14:15], s[20:21]
	s_mov_b32 s23, s19
	s_add_nc_u64 s[14:15], s[14:15], s[24:25]
	s_mov_b32 s3, s19
	s_mov_b32 s5, s19
	s_and_b32 s18, s0, 0x3ffffff
	s_and_b32 s0, s14, 0x3ffffff
	s_lshr_b64 s[14:15], s[14:15], 26
	s_mov_b32 s7, s19
	s_add_nc_u64 s[24:25], s[14:15], s[22:23]
	s_mul_u64 s[14:15], s[2:3], s[74:75]
	s_mul_u64 s[20:21], s[4:5], s[72:73]
	s_mov_b32 s9, s19
	s_mul_u64 s[22:23], s[6:7], s[68:69]
	s_add_nc_u64 s[14:15], s[20:21], s[14:15]
	s_mov_b32 s11, s19
	s_mul_u64 s[20:21], s[8:9], s[60:61]
	s_add_nc_u64 s[14:15], s[14:15], s[22:23]
	;; [unrolled: 3-line block ×3, first 2 shown]
	s_and_b64 s[16:17], s[16:17], 0x3fffff
	s_mul_u64 s[20:21], s[12:13], s[66:67]
	s_add_nc_u64 s[14:15], s[14:15], s[22:23]
	s_mul_u64 s[22:23], s[16:17], s[76:77]
	s_add_nc_u64 s[14:15], s[14:15], s[20:21]
	s_mov_b32 s1, s19
	s_mul_u64 s[20:21], s[18:19], s[84:85]
	s_add_nc_u64 s[14:15], s[14:15], s[22:23]
	s_mul_u64 s[22:23], s[0:1], s[62:63]
	s_add_nc_u64 s[14:15], s[14:15], s[20:21]
	;; [unrolled: 2-line block ×4, first 2 shown]
	s_mul_u64 s[20:21], s[2:3], s[70:71]
	s_mul_u64 s[26:27], s[6:7], s[72:73]
	s_add_nc_u64 s[20:21], s[22:23], s[20:21]
	s_mul_u64 s[22:23], s[8:9], s[68:69]
	s_add_nc_u64 s[20:21], s[20:21], s[26:27]
	;; [unrolled: 2-line block ×3, first 2 shown]
	s_mul_u64 s[30:31], s[2:3], s[62:63]
	s_mul_u64 s[34:35], s[4:5], s[70:71]
	;; [unrolled: 1-line block ×3, first 2 shown]
	s_add_nc_u64 s[20:21], s[20:21], s[26:27]
	s_mul_u64 s[36:37], s[6:7], s[74:75]
	s_add_nc_u64 s[30:31], s[34:35], s[30:31]
	s_mul_u64 s[26:27], s[16:17], s[66:67]
	;; [unrolled: 2-line block ×7, first 2 shown]
	s_add_nc_u64 s[30:31], s[30:31], s[36:37]
	s_lshr_b64 s[22:23], s[14:15], 26
	s_add_nc_u64 s[20:21], s[20:21], s[26:27]
	s_mul_u64 s[36:37], s[16:17], s[46:47]
	s_add_nc_u64 s[30:31], s[30:31], s[34:35]
	s_add_nc_u64 s[20:21], s[20:21], s[22:23]
	s_mul_u64 s[34:35], s[24:25], s[84:85]
	s_add_nc_u64 s[30:31], s[30:31], s[36:37]
	s_and_b32 s26, s14, 0x3ffffff
	s_and_b32 s14, s20, 0x3ffffff
	s_mov_b32 s15, s19
	s_lshr_b64 s[20:21], s[20:21], 26
	s_add_nc_u64 s[30:31], s[30:31], s[34:35]
	s_mul_u64 s[22:23], s[18:19], s[76:77]
	s_mul_u64 s[28:29], s[14:15], 0x3d10
	;; [unrolled: 1-line block ×3, first 2 shown]
	s_add_nc_u64 s[20:21], s[30:31], s[20:21]
	s_mul_u64 s[30:31], s[0:1], s[76:77]
	s_add_nc_u64 s[28:29], s[28:29], s[22:23]
	s_lshl_b64 s[14:15], s[14:15], 10
	s_add_nc_u64 s[30:31], s[30:31], s[34:35]
	s_mul_u64 s[34:35], s[2:3], s[84:85]
	s_mul_u64 s[40:41], s[4:5], s[62:63]
	s_lshr_b64 s[22:23], s[28:29], 26
	s_and_b32 s36, s20, 0x3ffffff
	s_mov_b32 s37, s19
	s_add_nc_u64 s[14:15], s[30:31], s[14:15]
	s_add_nc_u64 s[30:31], s[40:41], s[34:35]
	s_mul_u64 s[34:35], s[6:7], s[70:71]
	s_lshr_b64 s[38:39], s[20:21], 26
	s_mul_u64 s[20:21], s[36:37], 0x3d10
	s_add_nc_u64 s[14:15], s[14:15], s[22:23]
	s_add_nc_u64 s[22:23], s[30:31], s[34:35]
	s_mul_u64 s[30:31], s[8:9], s[74:75]
	s_add_nc_u64 s[20:21], s[14:15], s[20:21]
	s_add_nc_u64 s[14:15], s[22:23], s[30:31]
	s_mul_u64 s[22:23], s[10:11], s[72:73]
	s_lshl_b64 s[34:35], s[36:37], 10
	s_add_nc_u64 s[14:15], s[14:15], s[22:23]
	s_mul_u64 s[22:23], s[12:13], s[68:69]
	s_mul_u64 s[36:37], s[18:19], s[46:47]
	s_add_nc_u64 s[14:15], s[14:15], s[22:23]
	s_mul_u64 s[22:23], s[16:17], s[60:61]
	s_mov_b32 s41, s19
	s_add_nc_u64 s[14:15], s[14:15], s[22:23]
	s_mul_u64 s[22:23], s[0:1], s[66:67]
	s_add_nc_u64 s[14:15], s[14:15], s[38:39]
	s_mul_u64 s[38:39], s[24:25], s[76:77]
	s_add_nc_u64 s[22:23], s[22:23], s[36:37]
	s_and_b32 s40, s14, 0x3ffffff
	s_add_nc_u64 s[22:23], s[22:23], s[38:39]
	s_mul_u64 s[36:37], s[40:41], 0x3d10
	s_add_nc_u64 s[22:23], s[22:23], s[34:35]
	s_lshr_b64 s[30:31], s[20:21], 26
	s_add_nc_u64 s[22:23], s[22:23], s[36:37]
	s_mul_u64 s[34:35], s[4:5], s[84:85]
	s_mul_u64 s[38:39], s[6:7], s[62:63]
	s_add_nc_u64 s[36:37], s[22:23], s[30:31]
	s_add_nc_u64 s[22:23], s[38:39], s[34:35]
	s_mul_u64 s[30:31], s[8:9], s[70:71]
	s_lshr_b64 s[14:15], s[14:15], 26
	s_add_nc_u64 s[22:23], s[22:23], s[30:31]
	s_mul_u64 s[30:31], s[10:11], s[74:75]
	s_mul_u64 s[38:39], s[18:19], s[60:61]
	s_add_nc_u64 s[22:23], s[22:23], s[30:31]
	s_mul_u64 s[30:31], s[12:13], s[72:73]
	s_lshl_b64 s[34:35], s[40:41], 10
	s_add_nc_u64 s[22:23], s[22:23], s[30:31]
	s_mul_u64 s[30:31], s[16:17], s[68:69]
	s_mul_u64 s[40:41], s[0:1], s[46:47]
	s_add_nc_u64 s[22:23], s[22:23], s[30:31]
	s_mul_u64 s[30:31], s[2:3], s[76:77]
	s_add_nc_u64 s[14:15], s[22:23], s[14:15]
	s_add_nc_u64 s[22:23], s[38:39], s[30:31]
	s_mul_u64 s[42:43], s[24:25], s[66:67]
	s_add_nc_u64 s[22:23], s[22:23], s[40:41]
	s_and_b32 s30, s14, 0x3ffffff
	s_mov_b32 s31, s19
	s_add_nc_u64 s[22:23], s[22:23], s[42:43]
	s_mul_u64 s[38:39], s[30:31], 0x3d10
	s_add_nc_u64 s[22:23], s[22:23], s[34:35]
	s_lshr_b64 s[34:35], s[36:37], 26
	s_add_nc_u64 s[22:23], s[22:23], s[38:39]
	s_lshr_b64 s[38:39], s[14:15], 26
	s_add_nc_u64 s[14:15], s[22:23], s[34:35]
	s_mul_u64 s[34:35], s[6:7], s[84:85]
	s_mul_u64 s[40:41], s[8:9], s[62:63]
	;; [unrolled: 1-line block ×3, first 2 shown]
	s_add_nc_u64 s[34:35], s[40:41], s[34:35]
	s_mul_u64 s[40:41], s[10:11], s[70:71]
	s_mul_u64 s[50:51], s[4:5], s[76:77]
	s_add_nc_u64 s[34:35], s[34:35], s[40:41]
	s_mul_u64 s[40:41], s[12:13], s[74:75]
	s_lshl_b64 s[22:23], s[30:31], 10
	s_add_nc_u64 s[34:35], s[34:35], s[40:41]
	s_mul_u64 s[40:41], s[16:17], s[72:73]
	s_mul_u64 s[30:31], s[18:19], s[68:69]
	s_add_nc_u64 s[34:35], s[34:35], s[40:41]
	s_add_nc_u64 s[40:41], s[50:51], s[48:49]
	s_mul_u64 s[42:43], s[0:1], s[60:61]
	s_add_nc_u64 s[30:31], s[40:41], s[30:31]
	s_mul_u64 s[44:45], s[24:25], s[46:47]
	s_add_nc_u64 s[34:35], s[34:35], s[38:39]
	s_add_nc_u64 s[30:31], s[30:31], s[42:43]
	s_and_b32 s38, s34, 0x3ffffff
	s_mov_b32 s39, s19
	s_add_nc_u64 s[30:31], s[30:31], s[44:45]
	s_mul_u64 s[40:41], s[38:39], 0x3d10
	s_add_nc_u64 s[22:23], s[30:31], s[22:23]
	s_mul_u64 s[44:45], s[2:3], s[46:47]
	s_mul_u64 s[48:49], s[8:9], s[84:85]
	;; [unrolled: 1-line block ×4, first 2 shown]
	s_lshr_b64 s[30:31], s[14:15], 26
	s_add_nc_u64 s[22:23], s[22:23], s[40:41]
	s_add_nc_u64 s[48:49], s[50:51], s[48:49]
	s_mul_u64 s[50:51], s[12:13], s[70:71]
	s_mul_u64 s[54:55], s[6:7], s[76:77]
	s_add_nc_u64 s[44:45], s[52:53], s[44:45]
	s_add_nc_u64 s[22:23], s[22:23], s[30:31]
	s_lshl_b64 s[30:31], s[38:39], 10
	s_mul_u64 s[38:39], s[18:19], s[72:73]
	s_add_nc_u64 s[48:49], s[48:49], s[50:51]
	s_mul_u64 s[50:51], s[16:17], s[74:75]
	s_add_nc_u64 s[44:45], s[44:45], s[54:55]
	s_lshr_b64 s[34:35], s[34:35], 26
	s_mul_u64 s[40:41], s[0:1], s[68:69]
	s_add_nc_u64 s[48:49], s[48:49], s[50:51]
	s_add_nc_u64 s[38:39], s[44:45], s[38:39]
	s_mul_u64 s[42:43], s[24:25], s[60:61]
	s_add_nc_u64 s[34:35], s[48:49], s[34:35]
	s_add_nc_u64 s[38:39], s[38:39], s[40:41]
	s_mul_u64 s[48:49], s[2:3], s[60:61]
	s_mul_u64 s[50:51], s[4:5], s[46:47]
	s_and_b32 s44, s34, 0x3ffffff
	s_mov_b32 s45, s19
	s_add_nc_u64 s[38:39], s[38:39], s[42:43]
	s_mul_u64 s[52:53], s[6:7], s[66:67]
	s_add_nc_u64 s[48:49], s[50:51], s[48:49]
	s_mul_u64 s[40:41], s[44:45], 0x3d10
	;; [unrolled: 2-line block ×3, first 2 shown]
	s_mul_u64 s[56:57], s[12:13], s[62:63]
	s_mul_u64 s[58:59], s[8:9], s[76:77]
	s_add_nc_u64 s[48:49], s[48:49], s[52:53]
	s_add_nc_u64 s[30:31], s[30:31], s[40:41]
	s_mul_u64 s[40:41], s[18:19], s[74:75]
	s_add_nc_u64 s[54:55], s[56:57], s[54:55]
	s_mul_u64 s[50:51], s[16:17], s[70:71]
	s_add_nc_u64 s[48:49], s[48:49], s[58:59]
	s_lshr_b64 s[38:39], s[22:23], 26
	s_lshr_b64 s[34:35], s[34:35], 26
	s_mul_u64 s[42:43], s[0:1], s[72:73]
	s_add_nc_u64 s[50:51], s[54:55], s[50:51]
	s_add_nc_u64 s[40:41], s[48:49], s[40:41]
	;; [unrolled: 1-line block ×3, first 2 shown]
	s_lshl_b64 s[30:31], s[44:45], 10
	s_mul_u64 s[44:45], s[24:25], s[68:69]
	s_add_nc_u64 s[34:35], s[50:51], s[34:35]
	s_add_nc_u64 s[40:41], s[40:41], s[42:43]
	s_mul_u64 s[50:51], s[2:3], s[68:69]
	s_mul_u64 s[52:53], s[4:5], s[60:61]
	s_and_b32 s48, s34, 0x3ffffff
	s_mov_b32 s49, s19
	s_add_nc_u64 s[40:41], s[40:41], s[44:45]
	s_mul_u64 s[54:55], s[6:7], s[46:47]
	s_add_nc_u64 s[50:51], s[52:53], s[50:51]
	s_mul_u64 s[42:43], s[48:49], 0x3d10
	;; [unrolled: 2-line block ×3, first 2 shown]
	s_add_nc_u64 s[50:51], s[50:51], s[54:55]
	s_lshr_b64 s[40:41], s[38:39], 26
	s_add_nc_u64 s[30:31], s[30:31], s[42:43]
	s_mul_u64 s[58:59], s[10:11], s[76:77]
	s_add_nc_u64 s[50:51], s[50:51], s[56:57]
	s_lshr_b64 s[42:43], s[34:35], 26
	s_add_nc_u64 s[34:35], s[30:31], s[40:41]
	s_mul_u64 s[40:41], s[18:19], s[70:71]
	s_mul_u64 s[52:53], s[12:13], s[84:85]
	;; [unrolled: 1-line block ×3, first 2 shown]
	s_add_nc_u64 s[50:51], s[50:51], s[58:59]
	s_mul_u64 s[2:3], s[2:3], s[72:73]
	s_mul_u64 s[4:5], s[4:5], s[68:69]
	;; [unrolled: 1-line block ×3, first 2 shown]
	s_add_nc_u64 s[52:53], s[54:55], s[52:53]
	s_add_nc_u64 s[40:41], s[50:51], s[40:41]
	s_mul_u64 s[6:7], s[6:7], s[60:61]
	s_add_nc_u64 s[2:3], s[4:5], s[2:3]
	s_lshl_b64 s[30:31], s[48:49], 10
	s_mul_u64 s[48:49], s[24:25], s[72:73]
	s_add_nc_u64 s[42:43], s[52:53], s[42:43]
	s_add_nc_u64 s[40:41], s[40:41], s[44:45]
	s_mul_u64 s[4:5], s[8:9], s[46:47]
	s_add_nc_u64 s[2:3], s[2:3], s[6:7]
	s_and_b32 s50, s42, 0x3ffffff
	s_mov_b32 s51, s19
	s_add_nc_u64 s[40:41], s[40:41], s[48:49]
	s_mul_u64 s[6:7], s[10:11], s[66:67]
	s_add_nc_u64 s[2:3], s[2:3], s[4:5]
	s_mul_u64 s[44:45], s[50:51], 0x3d10
	;; [unrolled: 2-line block ×3, first 2 shown]
	s_add_nc_u64 s[2:3], s[2:3], s[6:7]
	s_add_nc_u64 s[30:31], s[30:31], s[44:45]
	s_mul_u64 s[44:45], s[18:19], s[62:63]
	s_add_nc_u64 s[2:3], s[2:3], s[4:5]
	s_lshr_b64 s[42:43], s[42:43], 26
	s_mul_u64 s[0:1], s[0:1], s[70:71]
	s_mul_u64 s[4:5], s[16:17], s[84:85]
	s_add_nc_u64 s[2:3], s[2:3], s[44:45]
	s_lshr_b64 s[40:41], s[34:35], 26
	s_mul_u64 s[6:7], s[24:25], s[74:75]
	s_add_nc_u64 s[4:5], s[42:43], s[4:5]
	s_add_nc_u64 s[0:1], s[2:3], s[0:1]
	;; [unrolled: 1-line block ×3, first 2 shown]
	s_lshl_b64 s[40:41], s[50:51], 10
	s_and_b32 s18, s4, 0x3ffffff
	s_add_nc_u64 s[0:1], s[0:1], s[6:7]
	s_mul_u64 s[2:3], s[18:19], 0x3d10
	s_add_nc_u64 s[0:1], s[0:1], s[40:41]
	s_mov_b32 s27, s19
	s_add_nc_u64 s[0:1], s[0:1], s[2:3]
	s_lshr_b64 s[2:3], s[4:5], 26
	s_lshr_b64 s[6:7], s[30:31], 26
	s_mul_u64 s[4:5], s[2:3], 0x3d10
	s_add_nc_u64 s[0:1], s[0:1], s[6:7]
	s_lshl_b64 s[6:7], s[18:19], 10
	s_add_nc_u64 s[4:5], s[4:5], s[26:27]
	s_lshr_b64 s[8:9], s[0:1], 26
	s_add_nc_u64 s[4:5], s[4:5], s[6:7]
	s_lshl_b64 s[2:3], s[2:3], 14
	s_add_nc_u64 s[4:5], s[4:5], s[8:9]
	s_and_b32 s6, s28, 0x3ffffff
	s_lshr_b64 s[8:9], s[4:5], 22
	s_mov_b32 s7, s19
	s_add_nc_u64 s[2:3], s[8:9], s[2:3]
	s_and_b32 s10, s20, 0x3ffffff
	s_mul_u64 s[8:9], s[2:3], 0x3d1
	s_lshl_b64 s[2:3], s[2:3], 6
	s_add_nc_u64 s[16:17], s[8:9], s[6:7]
	s_add_nc_u64 s[2:3], s[2:3], s[10:11]
	s_lshl_b32 s1, s16, 1
	s_lshr_b64 s[6:7], s[16:17], 26
	s_and_b32 s18, s1, 0x7fffffe
	s_lshl_b32 s1, s14, 1
	s_add_nc_u64 s[20:21], s[2:3], s[6:7]
	s_and_b32 s8, s1, 0x7fffffe
	s_lshl_b32 s1, s22, 1
	s_and_b32 s12, s36, 0x3ffffff
	s_and_b32 s42, s4, 0x3fffff
	s_lshr_b64 s[2:3], s[20:21], 26
	s_mov_b32 s9, s19
	s_and_b32 s48, s34, 0x3ffffff
	s_mov_b32 s49, s19
	s_and_b32 s4, s1, 0x7fffffe
	;; [unrolled: 2-line block ×3, first 2 shown]
	s_mov_b32 s53, s19
	s_mov_b32 s43, s19
	s_add_nc_u64 s[44:45], s[2:3], s[12:13]
	s_lshl_b32 s2, s20, 1
	s_mul_u64 s[24:25], s[48:49], s[8:9]
	s_mul_u64 s[26:27], s[52:53], s[4:5]
	s_and_b32 s2, s2, 0x7fffffe
	s_mov_b32 s3, s19
	s_and_b32 s50, s0, 0x3ffffff
	s_mul_u64 s[10:11], s[18:19], s[42:43]
	s_add_nc_u64 s[24:25], s[24:25], s[26:27]
	s_mul_u64 s[12:13], s[2:3], s[50:51]
	s_lshl_b32 s6, s44, 1
	s_mov_b32 s7, s19
	s_and_b32 s54, s30, 0x3ffffff
	s_mov_b32 s55, s19
	s_add_nc_u64 s[10:11], s[24:25], s[10:11]
	s_mul_u64 s[24:25], s[6:7], s[54:55]
	s_add_nc_u64 s[10:11], s[10:11], s[12:13]
	s_mul_u64 s[12:13], s[48:49], s[4:5]
	s_add_nc_u64 s[10:11], s[10:11], s[24:25]
	s_mul_u64 s[24:25], s[52:53], s[52:53]
	s_mul_u64 s[26:27], s[54:55], s[8:9]
	s_add_nc_u64 s[12:13], s[12:13], s[24:25]
	s_mul_u64 s[24:25], s[2:3], s[42:43]
	s_add_nc_u64 s[12:13], s[12:13], s[26:27]
	;; [unrolled: 2-line block ×3, first 2 shown]
	s_lshr_b64 s[24:25], s[10:11], 26
	s_add_nc_u64 s[12:13], s[12:13], s[26:27]
	s_and_b32 s26, s16, 0x3ffffff
	s_mov_b32 s27, s19
	v_writelane_b32 v19, s26, 4
	s_add_nc_u64 s[16:17], s[12:13], s[24:25]
	s_mov_b32 s25, s19
	s_and_b32 s24, s16, 0x3ffffff
	s_lshl_b32 s1, s38, 1
	v_writelane_b32 v19, s27, 5
	s_mul_u64 s[26:27], s[26:27], s[26:27]
	s_mul_u64 s[28:29], s[24:25], 0x3d10
	;; [unrolled: 1-line block ×3, first 2 shown]
	s_add_nc_u64 s[26:27], s[28:29], s[26:27]
	s_lshr_b64 s[28:29], s[16:17], 26
	s_and_b32 s16, s1, 0x7fffffe
	s_mov_b32 s17, s19
	s_mul_u64 s[40:41], s[50:51], s[8:9]
	s_mul_u64 s[38:39], s[48:49], s[16:17]
	s_and_b32 s56, s20, 0x3ffffff
	s_add_nc_u64 s[36:37], s[36:37], s[38:39]
	s_mul_u64 s[38:39], s[6:7], s[42:43]
	s_add_nc_u64 s[36:37], s[36:37], s[40:41]
	s_mov_b32 s57, s19
	s_add_nc_u64 s[20:21], s[36:37], s[38:39]
	s_lshl_b64 s[24:25], s[24:25], 10
	s_add_nc_u64 s[20:21], s[20:21], s[28:29]
	s_mul_u64 s[28:29], s[56:57], s[18:19]
	s_and_b64 s[12:13], s[10:11], 0x3fffffe
	s_and_b32 s10, s26, 0x3ffffff
	s_lshr_b64 s[26:27], s[26:27], 26
	s_and_b32 s36, s20, 0x3ffffff
	s_mov_b32 s37, s19
	s_add_nc_u64 s[24:25], s[24:25], s[28:29]
	s_mul_u64 s[28:29], s[36:37], 0x3d10
	s_add_nc_u64 s[24:25], s[24:25], s[26:27]
	s_mul_u64 s[38:39], s[48:49], s[48:49]
	;; [unrolled: 2-line block ×3, first 2 shown]
	s_mul_u64 s[40:41], s[50:51], s[4:5]
	s_add_nc_u64 s[28:29], s[28:29], s[38:39]
	s_mul_u64 s[38:39], s[42:43], s[8:9]
	s_add_nc_u64 s[28:29], s[28:29], s[40:41]
	s_lshr_b64 s[26:27], s[20:21], 26
	s_add_nc_u64 s[28:29], s[28:29], s[38:39]
	v_writelane_b32 v19, s56, 6
	s_mul_u64 s[38:39], s[44:45], s[18:19]
	s_add_nc_u64 s[26:27], s[28:29], s[26:27]
	s_mul_u64 s[28:29], s[56:57], s[56:57]
	s_lshl_b64 s[36:37], s[36:37], 10
	s_and_b32 s40, s26, 0x3ffffff
	s_mov_b32 s41, s19
	s_add_nc_u64 s[28:29], s[38:39], s[28:29]
	s_lshl_b32 s1, s34, 1
	v_writelane_b32 v19, s57, 7
	s_mul_u64 s[38:39], s[40:41], 0x3d10
	s_add_nc_u64 s[28:29], s[28:29], s[36:37]
	s_and_b32 s56, s14, 0x3ffffff
	s_and_b32 s14, s1, 0x7fffffe
	s_mov_b32 s15, s19
	s_add_nc_u64 s[28:29], s[28:29], s[38:39]
	s_mul_u64 s[34:35], s[50:51], s[16:17]
	s_mul_u64 s[38:39], s[54:55], s[14:15]
	s_and_b32 s20, s24, 0x3ffffff
	s_lshr_b64 s[24:25], s[24:25], 26
	s_mul_u64 s[4:5], s[42:43], s[4:5]
	s_add_nc_u64 s[34:35], s[34:35], s[38:39]
	s_add_nc_u64 s[24:25], s[28:29], s[24:25]
	s_lshr_b64 s[28:29], s[26:27], 26
	s_mov_b32 s57, s19
	s_add_nc_u64 s[4:5], s[34:35], s[4:5]
	s_mul_u64 s[34:35], s[18:19], s[56:57]
	s_add_nc_u64 s[4:5], s[4:5], s[28:29]
	s_mul_u64 s[28:29], s[44:45], s[2:3]
	s_lshl_b64 s[36:37], s[40:41], 10
	s_add_nc_u64 s[28:29], s[28:29], s[34:35]
	s_and_b32 s58, s22, 0x3ffffff
	s_add_nc_u64 s[28:29], s[28:29], s[36:37]
	s_mul_u64 s[22:23], s[50:51], s[14:15]
	s_mul_u64 s[36:37], s[54:55], s[54:55]
	s_mov_b32 s59, s19
	s_mul_u64 s[16:17], s[42:43], s[16:17]
	s_add_nc_u64 s[22:23], s[22:23], s[36:37]
	s_and_b32 s38, s4, 0x3ffffff
	s_mov_b32 s39, s19
	s_lshr_b64 s[4:5], s[4:5], 26
	s_mul_u64 s[36:37], s[18:19], s[58:59]
	s_add_nc_u64 s[16:17], s[22:23], s[16:17]
	s_mul_u64 s[22:23], s[2:3], s[56:57]
	v_writelane_b32 v19, s44, 8
	s_mul_u64 s[34:35], s[38:39], 0x3d10
	s_add_nc_u64 s[4:5], s[16:17], s[4:5]
	s_mul_u64 s[16:17], s[44:45], s[44:45]
	s_add_nc_u64 s[22:23], s[22:23], s[36:37]
	s_lshl_b32 s1, s30, 1
	s_add_nc_u64 s[28:29], s[28:29], s[34:35]
	s_lshl_b64 s[34:35], s[38:39], 10
	s_and_b32 s38, s4, 0x3ffffff
	s_add_nc_u64 s[16:17], s[22:23], s[16:17]
	s_and_b32 s30, s1, 0x7fffffe
	s_mov_b32 s31, s19
	v_writelane_b32 v19, s45, 9
	s_mul_u64 s[22:23], s[38:39], 0x3d10
	s_add_nc_u64 s[16:17], s[16:17], s[34:35]
	s_mul_u64 s[14:15], s[42:43], s[14:15]
	s_mul_u64 s[34:35], s[50:51], s[30:31]
	s_add_nc_u64 s[16:17], s[16:17], s[22:23]
	s_lshr_b64 s[22:23], s[4:5], 26
	s_add_nc_u64 s[14:15], s[14:15], s[34:35]
	s_and_b32 s26, s24, 0x3ffffff
	s_lshr_b64 s[24:25], s[24:25], 26
	s_add_nc_u64 s[14:15], s[14:15], s[22:23]
	s_mul_u64 s[22:23], s[6:7], s[56:57]
	v_writelane_b32 v19, s56, 10
	s_add_nc_u64 s[28:29], s[28:29], s[24:25]
	s_mul_u64 s[36:37], s[18:19], s[52:53]
	s_mul_u64 s[34:35], s[2:3], s[58:59]
	s_and_b32 s24, s28, 0x3ffffff
	s_lshr_b64 s[28:29], s[28:29], 26
	s_add_nc_u64 s[34:35], s[34:35], s[36:37]
	v_writelane_b32 v19, s57, 11
	s_add_nc_u64 s[16:17], s[16:17], s[28:29]
	s_lshl_b64 s[28:29], s[38:39], 10
	s_and_b32 s38, s14, 0x3ffffff
	s_add_nc_u64 s[22:23], s[34:35], s[22:23]
	s_mul_u64 s[34:35], s[38:39], 0x3d10
	s_add_nc_u64 s[22:23], s[22:23], s[28:29]
	s_and_b32 s4, s16, 0x3ffffff
	s_lshr_b64 s[16:17], s[16:17], 26
	s_add_nc_u64 s[22:23], s[22:23], s[34:35]
	s_lshl_b64 s[28:29], s[38:39], 10
	s_mul_u64 s[30:31], s[42:43], s[30:31]
	s_mul_u64 s[38:39], s[50:51], s[50:51]
	v_writelane_b32 v19, s50, 12
	s_add_nc_u64 s[16:17], s[22:23], s[16:17]
	s_lshr_b64 s[22:23], s[14:15], 26
	s_mul_u64 s[34:35], s[18:19], s[48:49]
	s_add_nc_u64 s[30:31], s[30:31], s[38:39]
	s_mul_u64 s[38:39], s[56:57], s[56:57]
	s_mul_u64 s[36:37], s[2:3], s[52:53]
	s_add_nc_u64 s[22:23], s[30:31], s[22:23]
	s_add_nc_u64 s[30:31], s[34:35], s[38:39]
	v_writelane_b32 v19, s51, 13
	s_mul_u64 s[40:41], s[6:7], s[58:59]
	s_add_nc_u64 s[30:31], s[30:31], s[36:37]
	s_mul_u64 s[38:39], s[6:7], s[52:53]
	s_add_nc_u64 s[30:31], s[30:31], s[40:41]
	s_and_b32 s34, s22, 0x3ffffff
	s_add_nc_u64 s[28:29], s[30:31], s[28:29]
	s_mul_u64 s[30:31], s[18:19], s[54:55]
	v_writelane_b32 v19, s54, 14
	s_mov_b32 s35, s19
	s_mul_u64 s[40:41], s[58:59], s[8:9]
	s_mul_u64 s[36:37], s[34:35], 0x3d10
	s_and_b32 s14, s16, 0x3ffffff
	v_writelane_b32 v19, s55, 15
	s_lshr_b64 s[16:17], s[16:17], 26
	s_add_nc_u64 s[28:29], s[28:29], s[36:37]
	s_lshl_b32 s33, s0, 1
	s_add_nc_u64 s[16:17], s[28:29], s[16:17]
	v_writelane_b32 v19, s52, 16
	s_lshl_b64 s[28:29], s[34:35], 10
	s_and_b32 s34, s33, 0x7fffffe
	s_lshr_b64 s[22:23], s[22:23], 26
	s_mul_u64 s[0:1], s[2:3], s[48:49]
	v_writelane_b32 v19, s53, 17
	s_mul_u64 s[34:35], s[42:43], s[34:35]
	s_add_nc_u64 s[30:31], s[30:31], s[40:41]
	s_add_nc_u64 s[22:23], s[22:23], s[34:35]
	;; [unrolled: 1-line block ×3, first 2 shown]
	v_writelane_b32 v19, s58, 18
	s_and_b32 s34, s22, 0x3ffffff
	s_mov_b32 s35, s19
	s_add_nc_u64 s[0:1], s[0:1], s[38:39]
	s_mul_u64 s[30:31], s[34:35], 0x3d10
	v_writelane_b32 v19, s59, 19
	s_add_nc_u64 s[0:1], s[0:1], s[28:29]
	s_mul_u64 s[8:9], s[52:53], s[8:9]
	s_add_nc_u64 s[0:1], s[0:1], s[30:31]
	s_mul_u64 s[30:31], s[58:59], s[58:59]
	v_writelane_b32 v19, s48, 20
	s_mul_u64 s[28:29], s[18:19], s[50:51]
	s_add_nc_u64 s[8:9], s[8:9], s[30:31]
	s_lshr_b64 s[22:23], s[22:23], 26
	s_mul_u64 s[2:3], s[2:3], s[54:55]
	v_writelane_b32 v19, s49, 21
	s_add_nc_u64 s[8:9], s[8:9], s[28:29]
	s_and_b32 s36, s16, 0x3ffffff
	s_lshr_b64 s[16:17], s[16:17], 26
	s_mul_u64 s[6:7], s[6:7], s[48:49]
	v_writelane_b32 v19, s42, 22
	s_mul_u64 s[30:31], s[42:43], s[42:43]
	s_add_nc_u64 s[2:3], s[8:9], s[2:3]
	s_add_nc_u64 s[22:23], s[22:23], s[30:31]
	;; [unrolled: 1-line block ×3, first 2 shown]
	s_lshl_b64 s[16:17], s[34:35], 10
	s_and_b32 s18, s22, 0x3ffffff
	s_add_nc_u64 s[2:3], s[2:3], s[6:7]
	s_mul_u64 s[6:7], s[18:19], 0x3d10
	s_add_nc_u64 s[2:3], s[2:3], s[16:17]
	s_lshr_b64 s[8:9], s[0:1], 26
	s_add_nc_u64 s[2:3], s[2:3], s[6:7]
	s_lshr_b64 s[6:7], s[22:23], 26
	s_add_nc_u64 s[2:3], s[2:3], s[8:9]
	s_mul_u64 s[8:9], s[6:7], 0x3d10
	s_lshl_b64 s[16:17], s[18:19], 10
	s_add_nc_u64 s[8:9], s[8:9], s[12:13]
	s_lshr_b64 s[12:13], s[2:3], 26
	s_add_nc_u64 s[8:9], s[8:9], s[16:17]
	s_and_b32 s16, s0, 0x3ffffff
	s_add_nc_u64 s[0:1], s[8:9], s[12:13]
	s_lshl_b64 s[6:7], s[6:7], 14
	s_lshr_b64 s[8:9], s[0:1], 22
	s_and_b32 s38, s2, 0x3ffffff
	s_add_nc_u64 s[2:3], s[8:9], s[6:7]
	s_mov_b32 s11, s19
	s_mov_b32 s25, s19
	;; [unrolled: 1-line block ×3, first 2 shown]
	s_mul_u64 s[6:7], s[2:3], 0x3d1
	s_mov_b32 s15, s19
	s_and_b32 s18, s0, 0x3fffff
	s_add_nc_u64 s[0:1], s[6:7], s[10:11]
	s_mul_u64 s[8:9], s[24:25], s[74:75]
	s_mul_u64 s[10:11], s[4:5], s[72:73]
	s_mov_b32 s37, s19
	s_mul_u64 s[12:13], s[14:15], s[68:69]
	s_add_nc_u64 s[8:9], s[10:11], s[8:9]
	s_mov_b32 s17, s19
	s_mul_u64 s[10:11], s[36:37], s[60:61]
	s_add_nc_u64 s[8:9], s[8:9], s[12:13]
	s_mov_b32 s21, s19
	s_mov_b32 s39, s19
	s_lshl_b64 s[2:3], s[2:3], 6
	s_mul_u64 s[12:13], s[16:17], s[46:47]
	s_add_nc_u64 s[8:9], s[8:9], s[10:11]
	s_lshr_b64 s[6:7], s[0:1], 26
	s_add_nc_u64 s[2:3], s[2:3], s[20:21]
	s_mul_u64 s[10:11], s[38:39], s[66:67]
	s_add_nc_u64 s[8:9], s[8:9], s[12:13]
	s_and_b32 s0, s0, 0x3ffffff
	s_add_nc_u64 s[6:7], s[2:3], s[6:7]
	s_mov_b32 s1, s19
	s_mul_u64 s[12:13], s[18:19], s[76:77]
	s_add_nc_u64 s[8:9], s[8:9], s[10:11]
	s_mov_b32 s27, s19
	s_and_b32 s2, s6, 0x3ffffff
	s_lshr_b64 s[6:7], s[6:7], 26
	s_mov_b32 s3, s19
	s_mul_u64 s[10:11], s[0:1], s[84:85]
	s_add_nc_u64 s[8:9], s[8:9], s[12:13]
	s_add_nc_u64 s[6:7], s[6:7], s[26:27]
	s_mul_u64 s[12:13], s[2:3], s[62:63]
	s_add_nc_u64 s[8:9], s[8:9], s[10:11]
	s_mul_u64 s[10:11], s[6:7], s[70:71]
	;; [unrolled: 2-line block ×4, first 2 shown]
	s_mul_u64 s[20:21], s[14:15], s[72:73]
	s_add_nc_u64 s[10:11], s[12:13], s[10:11]
	s_mul_u64 s[12:13], s[36:37], s[68:69]
	s_add_nc_u64 s[10:11], s[10:11], s[20:21]
	s_mul_u64 s[20:21], s[16:17], s[60:61]
	s_add_nc_u64 s[10:11], s[10:11], s[12:13]
	s_mul_u64 s[26:27], s[24:25], s[62:63]
	s_mul_u64 s[28:29], s[4:5], s[70:71]
	;; [unrolled: 1-line block ×3, first 2 shown]
	s_add_nc_u64 s[10:11], s[10:11], s[20:21]
	s_mul_u64 s[30:31], s[14:15], s[74:75]
	s_add_nc_u64 s[26:27], s[28:29], s[26:27]
	s_mul_u64 s[20:21], s[18:19], s[66:67]
	;; [unrolled: 2-line block ×7, first 2 shown]
	s_add_nc_u64 s[26:27], s[26:27], s[30:31]
	s_lshr_b64 s[12:13], s[8:9], 26
	s_add_nc_u64 s[10:11], s[10:11], s[20:21]
	s_mul_u64 s[30:31], s[18:19], s[46:47]
	s_add_nc_u64 s[26:27], s[26:27], s[28:29]
	s_add_nc_u64 s[12:13], s[10:11], s[12:13]
	s_mul_u64 s[28:29], s[6:7], s[84:85]
	s_add_nc_u64 s[26:27], s[26:27], s[30:31]
	s_and_b32 s20, s12, 0x3ffffff
	s_mov_b32 s21, s19
	s_lshr_b64 s[12:13], s[12:13], 26
	s_add_nc_u64 s[26:27], s[26:27], s[28:29]
	s_mul_u64 s[10:11], s[0:1], s[76:77]
	s_mul_u64 s[22:23], s[20:21], 0x3d10
	;; [unrolled: 1-line block ×3, first 2 shown]
	s_add_nc_u64 s[12:13], s[26:27], s[12:13]
	s_mul_u64 s[26:27], s[2:3], s[76:77]
	s_add_nc_u64 s[10:11], s[22:23], s[10:11]
	s_lshl_b64 s[20:21], s[20:21], 10
	s_add_nc_u64 s[26:27], s[26:27], s[28:29]
	s_mul_u64 s[28:29], s[24:25], s[84:85]
	s_mul_u64 s[40:41], s[4:5], s[62:63]
	s_lshr_b64 s[22:23], s[10:11], 26
	s_and_b32 s30, s12, 0x3ffffff
	s_mov_b32 s31, s19
	s_add_nc_u64 s[20:21], s[26:27], s[20:21]
	s_add_nc_u64 s[26:27], s[40:41], s[28:29]
	s_mul_u64 s[28:29], s[14:15], s[70:71]
	s_lshr_b64 s[34:35], s[12:13], 26
	s_mul_u64 s[12:13], s[30:31], 0x3d10
	s_add_nc_u64 s[20:21], s[20:21], s[22:23]
	s_add_nc_u64 s[22:23], s[26:27], s[28:29]
	s_mul_u64 s[26:27], s[36:37], s[74:75]
	s_add_nc_u64 s[12:13], s[20:21], s[12:13]
	s_add_nc_u64 s[20:21], s[22:23], s[26:27]
	s_mul_u64 s[22:23], s[16:17], s[72:73]
	s_lshl_b64 s[28:29], s[30:31], 10
	s_add_nc_u64 s[20:21], s[20:21], s[22:23]
	s_mul_u64 s[22:23], s[38:39], s[68:69]
	s_mul_u64 s[30:31], s[0:1], s[46:47]
	s_add_nc_u64 s[20:21], s[20:21], s[22:23]
	s_mul_u64 s[22:23], s[18:19], s[60:61]
	s_mov_b32 s41, s19
	s_add_nc_u64 s[20:21], s[20:21], s[22:23]
	s_mul_u64 s[22:23], s[2:3], s[66:67]
	s_add_nc_u64 s[20:21], s[20:21], s[34:35]
	s_mul_u64 s[34:35], s[6:7], s[76:77]
	s_add_nc_u64 s[22:23], s[22:23], s[30:31]
	s_and_b32 s40, s20, 0x3ffffff
	s_add_nc_u64 s[22:23], s[22:23], s[34:35]
	s_mul_u64 s[30:31], s[40:41], 0x3d10
	s_add_nc_u64 s[22:23], s[22:23], s[28:29]
	s_lshr_b64 s[26:27], s[12:13], 26
	s_lshr_b64 s[28:29], s[20:21], 26
	s_add_nc_u64 s[20:21], s[22:23], s[30:31]
	s_mul_u64 s[22:23], s[4:5], s[84:85]
	s_mul_u64 s[30:31], s[14:15], s[62:63]
	s_add_nc_u64 s[20:21], s[20:21], s[26:27]
	s_add_nc_u64 s[22:23], s[30:31], s[22:23]
	s_mul_u64 s[26:27], s[36:37], s[70:71]
	s_mul_u64 s[34:35], s[0:1], s[60:61]
	s_add_nc_u64 s[22:23], s[22:23], s[26:27]
	s_mul_u64 s[26:27], s[16:17], s[74:75]
	s_lshl_b64 s[30:31], s[40:41], 10
	s_add_nc_u64 s[22:23], s[22:23], s[26:27]
	s_mul_u64 s[26:27], s[38:39], s[72:73]
	s_mul_u64 s[40:41], s[2:3], s[46:47]
	s_add_nc_u64 s[22:23], s[22:23], s[26:27]
	s_mul_u64 s[26:27], s[18:19], s[68:69]
	v_writelane_b32 v19, s43, 23
	s_add_nc_u64 s[22:23], s[22:23], s[26:27]
	s_mul_u64 s[26:27], s[24:25], s[76:77]
	s_mul_u64 s[42:43], s[6:7], s[66:67]
	s_add_nc_u64 s[26:27], s[34:35], s[26:27]
	s_add_nc_u64 s[22:23], s[22:23], s[28:29]
	s_add_nc_u64 s[26:27], s[26:27], s[40:41]
	s_and_b32 s28, s22, 0x3ffffff
	s_mov_b32 s29, s19
	s_add_nc_u64 s[26:27], s[26:27], s[42:43]
	s_mul_u64 s[34:35], s[28:29], 0x3d10
	s_add_nc_u64 s[26:27], s[26:27], s[30:31]
	s_lshr_b64 s[30:31], s[20:21], 26
	s_add_nc_u64 s[26:27], s[26:27], s[34:35]
	s_lshr_b64 s[34:35], s[22:23], 26
	s_add_nc_u64 s[22:23], s[26:27], s[30:31]
	s_mul_u64 s[30:31], s[14:15], s[84:85]
	s_mul_u64 s[40:41], s[36:37], s[62:63]
	;; [unrolled: 1-line block ×3, first 2 shown]
	s_add_nc_u64 s[30:31], s[40:41], s[30:31]
	s_mul_u64 s[40:41], s[16:17], s[70:71]
	s_mul_u64 s[50:51], s[4:5], s[76:77]
	s_add_nc_u64 s[30:31], s[30:31], s[40:41]
	s_mul_u64 s[40:41], s[38:39], s[74:75]
	s_lshl_b64 s[26:27], s[28:29], 10
	s_add_nc_u64 s[30:31], s[30:31], s[40:41]
	s_mul_u64 s[40:41], s[18:19], s[72:73]
	s_mul_u64 s[28:29], s[0:1], s[68:69]
	s_add_nc_u64 s[30:31], s[30:31], s[40:41]
	s_add_nc_u64 s[40:41], s[50:51], s[48:49]
	s_mul_u64 s[42:43], s[2:3], s[60:61]
	s_add_nc_u64 s[28:29], s[40:41], s[28:29]
	s_mul_u64 s[48:49], s[36:37], s[84:85]
	s_mul_u64 s[50:51], s[16:17], s[62:63]
	;; [unrolled: 1-line block ×3, first 2 shown]
	s_add_nc_u64 s[30:31], s[30:31], s[34:35]
	s_add_nc_u64 s[28:29], s[28:29], s[42:43]
	;; [unrolled: 1-line block ×3, first 2 shown]
	s_mul_u64 s[50:51], s[38:39], s[70:71]
	s_and_b32 s34, s30, 0x3ffffff
	s_mov_b32 s35, s19
	s_add_nc_u64 s[28:29], s[28:29], s[44:45]
	s_add_nc_u64 s[48:49], s[48:49], s[50:51]
	s_mul_u64 s[50:51], s[18:19], s[74:75]
	s_mul_u64 s[40:41], s[34:35], 0x3d10
	s_add_nc_u64 s[26:27], s[28:29], s[26:27]
	s_lshr_b64 s[30:31], s[30:31], 26
	s_mul_u64 s[44:45], s[24:25], s[46:47]
	s_mul_u64 s[52:53], s[4:5], s[66:67]
	s_add_nc_u64 s[48:49], s[48:49], s[50:51]
	s_lshr_b64 s[28:29], s[22:23], 26
	s_add_nc_u64 s[26:27], s[26:27], s[40:41]
	s_mul_u64 s[54:55], s[14:15], s[76:77]
	s_add_nc_u64 s[44:45], s[52:53], s[44:45]
	s_add_nc_u64 s[30:31], s[48:49], s[30:31]
	s_mul_u64 s[48:49], s[24:25], s[60:61]
	s_mul_u64 s[50:51], s[4:5], s[46:47]
	s_add_nc_u64 s[26:27], s[26:27], s[28:29]
	s_lshl_b64 s[28:29], s[34:35], 10
	s_mul_u64 s[34:35], s[0:1], s[72:73]
	s_add_nc_u64 s[44:45], s[44:45], s[54:55]
	s_mul_u64 s[52:53], s[14:15], s[66:67]
	s_mul_u64 s[54:55], s[16:17], s[84:85]
	;; [unrolled: 1-line block ×3, first 2 shown]
	s_add_nc_u64 s[48:49], s[50:51], s[48:49]
	s_mul_u64 s[40:41], s[2:3], s[68:69]
	s_mul_u64 s[42:43], s[6:7], s[60:61]
	s_add_nc_u64 s[34:35], s[44:45], s[34:35]
	s_add_nc_u64 s[54:55], s[56:57], s[54:55]
	s_mul_u64 s[50:51], s[18:19], s[70:71]
	s_add_nc_u64 s[48:49], s[48:49], s[52:53]
	s_mul_u64 s[52:53], s[4:5], s[60:61]
	v_writelane_b32 v18, s60, 0
	s_and_b32 s44, s30, 0x3ffffff
	s_add_nc_u64 s[34:35], s[34:35], s[40:41]
	s_lshr_b64 s[30:31], s[30:31], 26
	s_add_nc_u64 s[50:51], s[54:55], s[50:51]
	s_mov_b32 s45, s19
	s_add_nc_u64 s[34:35], s[34:35], s[42:43]
	s_add_nc_u64 s[30:31], s[50:51], s[30:31]
	s_mul_u64 s[50:51], s[24:25], s[68:69]
	v_writelane_b32 v18, s61, 1
	s_mul_u64 s[40:41], s[44:45], 0x3d10
	s_add_nc_u64 s[28:29], s[34:35], s[28:29]
	s_mul_u64 s[58:59], s[36:37], s[76:77]
	s_mul_u64 s[54:55], s[14:15], s[46:47]
	s_add_nc_u64 s[50:51], s[52:53], s[50:51]
	s_add_nc_u64 s[28:29], s[28:29], s[40:41]
	s_mul_u64 s[40:41], s[0:1], s[74:75]
	s_add_nc_u64 s[48:49], s[48:49], s[58:59]
	s_add_nc_u64 s[50:51], s[50:51], s[54:55]
	s_mul_u64 s[54:55], s[18:19], s[62:63]
	v_writelane_b32 v19, s62, 24
	s_lshr_b64 s[34:35], s[26:27], 26
	s_mul_u64 s[42:43], s[2:3], s[72:73]
	s_add_nc_u64 s[40:41], s[48:49], s[40:41]
	v_writelane_b32 v18, s46, 2
	s_add_nc_u64 s[28:29], s[28:29], s[34:35]
	s_lshl_b64 s[34:35], s[44:45], 10
	s_mul_u64 s[44:45], s[6:7], s[68:69]
	s_add_nc_u64 s[40:41], s[40:41], s[42:43]
	v_writelane_b32 v19, s63, 25
	s_and_b32 s48, s30, 0x3ffffff
	s_mov_b32 s49, s19
	s_add_nc_u64 s[40:41], s[40:41], s[44:45]
	v_writelane_b32 v18, s47, 3
	s_mul_u64 s[42:43], s[48:49], 0x3d10
	s_add_nc_u64 s[34:35], s[40:41], s[34:35]
	s_mul_u64 s[56:57], s[36:37], s[66:67]
	s_add_nc_u64 s[34:35], s[34:35], s[42:43]
	s_mul_u64 s[42:43], s[0:1], s[70:71]
	v_writelane_b32 v19, s70, 26
	v_writelane_b32 v18, s66, 4
	s_lshr_b64 s[40:41], s[28:29], 26
	s_mul_u64 s[58:59], s[16:17], s[76:77]
	s_add_nc_u64 s[34:35], s[34:35], s[40:41]
	v_writelane_b32 v19, s71, 27
	v_writelane_b32 v18, s67, 5
	s_lshl_b64 s[40:41], s[48:49], 10
	s_mul_u64 s[48:49], s[6:7], s[72:73]
	s_add_nc_u64 s[50:51], s[50:51], s[56:57]
	v_writelane_b32 v19, s72, 28
	v_writelane_b32 v18, s76, 6
	s_mul_u64 s[24:25], s[24:25], s[72:73]
	s_mul_u64 s[44:45], s[2:3], s[74:75]
	;; [unrolled: 1-line block ×3, first 2 shown]
	v_writelane_b32 v19, s73, 29
	v_writelane_b32 v18, s77, 7
	s_add_nc_u64 s[50:51], s[50:51], s[58:59]
	s_mul_u64 s[14:15], s[14:15], s[60:61]
	s_lshr_b64 s[30:31], s[30:31], 26
	v_writelane_b32 v19, s68, 30
	s_mul_u64 s[4:5], s[4:5], s[68:69]
	v_writelane_b32 v18, s74, 8
	s_add_nc_u64 s[4:5], s[4:5], s[24:25]
	s_add_nc_u64 s[52:53], s[54:55], s[52:53]
	;; [unrolled: 1-line block ×3, first 2 shown]
	s_mul_u64 s[24:25], s[36:37], s[46:47]
	s_add_nc_u64 s[4:5], s[4:5], s[14:15]
	s_add_nc_u64 s[30:31], s[52:53], s[30:31]
	;; [unrolled: 1-line block ×3, first 2 shown]
	s_mul_u64 s[14:15], s[16:17], s[66:67]
	s_add_nc_u64 s[4:5], s[4:5], s[24:25]
	v_writelane_b32 v18, s75, 9
	s_and_b32 s50, s30, 0x3ffffff
	s_mov_b32 s51, s19
	s_add_nc_u64 s[42:43], s[42:43], s[48:49]
	s_mul_u64 s[16:17], s[38:39], s[76:77]
	s_add_nc_u64 s[4:5], s[4:5], s[14:15]
	s_mul_u64 s[44:45], s[50:51], 0x3d10
	;; [unrolled: 2-line block ×3, first 2 shown]
	s_add_nc_u64 s[4:5], s[4:5], s[16:17]
	s_add_nc_u64 s[40:41], s[40:41], s[44:45]
	s_lshr_b64 s[44:45], s[30:31], 26
	s_mul_u64 s[2:3], s[2:3], s[70:71]
	v_writelane_b32 v18, s84, 10
	s_mul_u64 s[14:15], s[18:19], s[84:85]
	s_add_nc_u64 s[0:1], s[4:5], s[0:1]
	s_lshr_b64 s[42:43], s[34:35], 26
	s_mul_u64 s[6:7], s[6:7], s[74:75]
	s_add_nc_u64 s[4:5], s[44:45], s[14:15]
	s_add_nc_u64 s[0:1], s[0:1], s[2:3]
	;; [unrolled: 1-line block ×3, first 2 shown]
	s_lshl_b64 s[40:41], s[50:51], 10
	s_and_b32 s18, s4, 0x3ffffff
	s_add_nc_u64 s[0:1], s[0:1], s[6:7]
	s_mul_u64 s[2:3], s[18:19], 0x3d10
	s_add_nc_u64 s[0:1], s[0:1], s[40:41]
	s_lshr_b64 s[6:7], s[30:31], 26
	s_add_nc_u64 s[0:1], s[0:1], s[2:3]
	s_lshr_b64 s[2:3], s[4:5], 26
	s_and_b32 s8, s8, 0x3ffffff
	s_mov_b32 s9, s19
	s_add_nc_u64 s[48:49], s[0:1], s[6:7]
	s_mul_u64 s[0:1], s[2:3], 0x3d10
	s_lshl_b64 s[4:5], s[18:19], 10
	s_add_nc_u64 s[0:1], s[0:1], s[8:9]
	s_lshr_b64 s[6:7], s[48:49], 26
	s_add_nc_u64 s[0:1], s[0:1], s[4:5]
	s_lshl_b64 s[2:3], s[2:3], 14
	s_add_nc_u64 s[14:15], s[0:1], s[6:7]
	s_and_b32 s0, s10, 0x3ffffff
	s_lshr_b64 s[4:5], s[14:15], 22
	s_mov_b32 s1, s19
	s_add_nc_u64 s[2:3], s[4:5], s[2:3]
	s_and_b32 s4, s12, 0x3ffffff
	s_mul_u64 s[6:7], s[2:3], 0x3d1
	s_mov_b32 s5, s19
	s_add_nc_u64 s[36:37], s[6:7], s[0:1]
	s_lshl_b64 s[0:1], s[2:3], 6
	s_lshr_b64 s[2:3], s[36:37], 26
	s_add_nc_u64 s[0:1], s[0:1], s[4:5]
	v_writelane_b32 v18, s85, 11
	s_add_nc_u64 s[38:39], s[0:1], s[2:3]
	s_and_b32 s4, s20, 0x3ffffff
	s_lshr_b64 s[0:1], s[38:39], 26
	s_mov_b64 s[46:47], s[22:23]
	s_add_nc_u64 s[24:25], s[0:1], s[4:5]
	s_mov_b32 s0, s26
	v_writelane_b32 v18, s24, 12
	s_mov_b32 s33, 3
	s_mov_b64 s[50:51], s[36:37]
	s_mov_b64 s[4:5], s[38:39]
	;; [unrolled: 1-line block ×3, first 2 shown]
	v_writelane_b32 v18, s25, 13
	s_mov_b64 s[6:7], s[26:27]
	s_mov_b64 s[52:53], s[28:29]
	;; [unrolled: 1-line block ×4, first 2 shown]
	v_writelane_b32 v18, s0, 14
	s_mov_b64 s[42:43], s[48:49]
	v_writelane_b32 v19, s69, 31
	v_writelane_b32 v18, s1, 15
	s_mov_b32 s0, s28
	s_delay_alu instid0(SALU_CYCLE_1) | instskip(SKIP_2) | instid1(SALU_CYCLE_1)
	v_writelane_b32 v18, s0, 16
	v_writelane_b32 v18, s1, 17
	s_mov_b32 s0, s34
	v_writelane_b32 v18, s0, 18
	v_writelane_b32 v18, s1, 19
	s_mov_b32 s0, s30
	s_delay_alu instid0(SALU_CYCLE_1)
	v_writelane_b32 v18, s0, 20
	v_writelane_b32 v18, s1, 21
	s_mov_b64 s[0:1], s[14:15]
.LBB0_3:                                ; =>This Inner Loop Header: Depth=1
	s_lshl_b32 s16, s50, 1
	s_lshl_b32 s22, s20, 1
	;; [unrolled: 1-line block ×4, first 2 shown]
	s_and_b32 s2, s42, 0x3ffffff
	s_lshl_b32 s58, s24, 1
	s_mov_b32 s59, s19
	s_mov_b32 s17, s19
	s_and_b32 s10, s44, 0x3ffffff
	s_mov_b32 s11, s19
	s_mov_b32 s43, s19
	s_and_b32 s40, s52, 0x3ffffff
	s_mov_b32 s41, s19
	s_and_b64 s[68:69], s[50:51], 0x3ffffff
	s_and_b32 s50, s4, 0x3ffffff
	s_lshl_b32 s4, s52, 1
	s_and_b32 s70, s20, 0x3ffffff
	s_mov_b32 s71, s19
	s_and_b32 s66, s6, 0x3ffffff
	s_mov_b32 s67, s19
	s_lshl_b32 s27, s42, 1
	s_and_b32 s18, s16, 0x7fffffe
	s_and_b32 s16, s22, 0x7fffffe
	;; [unrolled: 1-line block ×4, first 2 shown]
	s_mov_b32 s9, s19
	s_mov_b32 s53, s19
	s_and_b32 s52, s4, 0x7fffffe
	s_mul_u64 s[96:97], s[66:67], s[58:59]
	s_mul_u64 s[98:99], s[70:71], s[70:71]
	s_and_b32 s82, s27, 0x7fffffe
	s_mul_u64 s[26:27], s[10:11], s[16:17]
	s_mul_u64 s[28:29], s[42:43], s[40:41]
	s_mov_b32 s51, s19
	s_lshl_b32 s20, s44, 1
	s_mul_u64 s[84:85], s[40:41], s[40:41]
	s_mul_u64 s[30:31], s[10:11], s[42:43]
	s_add_nc_u64 s[96:97], s[96:97], s[98:99]
	s_mul_u64 s[98:99], s[8:9], s[42:43]
	s_add_nc_u64 s[26:27], s[26:27], s[28:29]
	s_mul_u64 s[28:29], s[52:53], s[10:11]
	s_mov_b32 s3, s19
	s_mov_b32 s73, s19
	s_mul_u64 s[88:89], s[50:51], s[50:51]
	s_mul_u64 s[90:91], s[10:11], s[10:11]
	s_and_b32 s72, s20, 0x7fffffe
	s_add_nc_u64 s[30:31], s[30:31], s[84:85]
	s_mul_u64 s[84:85], s[8:9], s[52:53]
	s_add_nc_u64 s[28:29], s[98:99], s[28:29]
	s_mul_u64 s[98:99], s[18:19], s[24:25]
	s_mov_b32 s7, s19
	s_and_b32 s6, s23, 0x7fffffe
	s_add_nc_u64 s[90:91], s[84:85], s[90:91]
	s_mul_u64 s[84:85], s[2:3], s[52:53]
	s_add_nc_u64 s[88:89], s[98:99], s[88:89]
	s_mul_u64 s[98:99], s[72:73], s[8:9]
	s_mul_u64 s[74:75], s[24:25], s[24:25]
	s_lshl_b32 s12, s12, 1
	s_add_nc_u64 s[98:99], s[84:85], s[98:99]
	s_mul_u64 s[84:85], s[70:71], s[18:19]
	s_mul_u64 s[24:25], s[6:7], s[24:25]
	s_and_b64 s[0:1], s[0:1], 0x3fffff
	s_mov_b32 s81, s19
	s_mul_u64 s[92:93], s[8:9], s[8:9]
	s_and_b32 s80, s12, 0x7fffffe
	s_add_nc_u64 s[84:85], s[84:85], s[24:25]
	s_mul_u64 s[24:25], s[2:3], s[72:73]
	s_mul_u64 s[94:95], s[58:59], s[70:71]
	;; [unrolled: 1-line block ×4, first 2 shown]
	s_add_nc_u64 s[92:93], s[24:25], s[92:93]
	s_mul_u64 s[24:25], s[80:81], s[2:3]
	s_mul_u64 s[86:87], s[8:9], s[58:59]
	s_add_nc_u64 s[74:75], s[70:71], s[74:75]
	s_add_nc_u64 s[70:71], s[72:73], s[24:25]
	s_mul_u64 s[24:25], s[66:67], s[6:7]
	s_mul_u64 s[100:101], s[2:3], s[2:3]
	;; [unrolled: 1-line block ×3, first 2 shown]
	s_add_nc_u64 s[80:81], s[24:25], s[94:95]
	s_mul_u64 s[94:95], s[40:41], s[6:7]
	s_add_nc_u64 s[26:27], s[26:27], s[86:87]
	s_mul_u64 s[86:87], s[8:9], s[16:17]
	s_mul_u64 s[102:103], s[40:41], s[58:59]
	;; [unrolled: 1-line block ×3, first 2 shown]
	s_add_nc_u64 s[24:25], s[72:73], s[100:101]
	s_mul_u64 s[72:73], s[16:17], s[66:67]
	s_add_nc_u64 s[94:95], s[96:97], s[94:95]
	s_mul_u64 s[96:97], s[40:41], s[16:17]
	;; [unrolled: 2-line block ×3, first 2 shown]
	s_mul_u64 vcc, s[10:11], s[58:59]
	s_add_nc_u64 s[72:73], s[102:103], s[72:73]
	s_mul_u64 s[100:101], s[2:3], s[6:7]
	s_add_nc_u64 s[22:23], s[96:97], s[22:23]
	s_add_nc_u64 s[28:29], s[28:29], s[86:87]
	s_mul_u64 s[86:87], s[10:11], s[18:19]
	s_mul_u64 s[10:11], s[10:11], s[6:7]
	s_mov_b32 s83, s19
	s_mul_u64 s[76:77], s[2:3], s[58:59]
	s_mul_u64 s[34:35], s[0:1], s[18:19]
	;; [unrolled: 1-line block ×5, first 2 shown]
	s_add_nc_u64 s[10:11], s[72:73], s[10:11]
	s_add_nc_u64 s[22:23], s[22:23], vcc
	s_add_nc_u64 s[26:27], s[26:27], s[100:101]
	s_mul_u64 s[78:79], s[0:1], s[58:59]
	s_mul_u64 s[58:59], s[0:1], s[0:1]
	;; [unrolled: 1-line block ×8, first 2 shown]
	s_add_nc_u64 s[30:31], s[30:31], s[76:77]
	s_add_nc_u64 s[8:9], s[10:11], s[8:9]
	;; [unrolled: 1-line block ×6, first 2 shown]
	s_lshr_b64 s[6:7], s[10:11], 26
	s_mov_b32 s13, s19
	s_add_nc_u64 s[6:7], s[22:23], s[6:7]
	s_add_nc_u64 s[28:29], s[28:29], s[78:79]
	s_and_b32 s12, s6, 0x3ffffff
	s_lshr_b64 s[6:7], s[6:7], 26
	s_mul_u64 s[68:69], s[68:69], s[68:69]
	s_add_nc_u64 s[42:43], s[90:91], s[42:43]
	s_mul_u64 s[22:23], s[12:13], 0x3d10
	s_add_nc_u64 s[6:7], s[28:29], s[6:7]
	;; [unrolled: 2-line block ×3, first 2 shown]
	s_lshl_b64 s[12:13], s[12:13], 10
	s_add_nc_u64 s[22:23], s[22:23], s[68:69]
	s_and_b32 s44, s6, 0x3ffffff
	s_lshr_b64 s[6:7], s[6:7], 26
	s_mov_b32 s45, s19
	s_add_nc_u64 s[12:13], s[12:13], s[50:51]
	s_lshr_b64 s[26:27], s[22:23], 26
	s_add_nc_u64 s[6:7], s[16:17], s[6:7]
	s_mov_b32 s21, s19
	s_add_nc_u64 s[0:1], s[98:99], s[0:1]
	s_mul_u64 s[28:29], s[44:45], 0x3d10
	s_lshl_b64 s[30:31], s[44:45], 10
	s_add_nc_u64 s[12:13], s[12:13], s[26:27]
	s_and_b32 s20, s6, 0x3ffffff
	s_lshr_b64 s[6:7], s[6:7], 26
	s_add_nc_u64 s[16:17], s[88:89], s[30:31]
	s_add_nc_u64 s[26:27], s[12:13], s[28:29]
	s_mul_u64 s[12:13], s[20:21], 0x3d10
	s_add_nc_u64 s[0:1], s[0:1], s[6:7]
	s_mov_b32 s55, s19
	s_add_nc_u64 s[52:53], s[92:93], s[52:53]
	s_lshl_b64 s[20:21], s[20:21], 10
	s_lshr_b64 s[6:7], s[26:27], 26
	s_add_nc_u64 s[12:13], s[16:17], s[12:13]
	s_and_b32 s54, s0, 0x3ffffff
	s_lshr_b64 s[0:1], s[0:1], 26
	s_mul_u64 s[66:67], s[66:67], s[18:19]
	s_add_nc_u64 s[16:17], s[84:85], s[20:21]
	s_add_nc_u64 s[28:29], s[12:13], s[6:7]
	s_mul_u64 s[6:7], s[54:55], 0x3d10
	s_add_nc_u64 s[0:1], s[52:53], s[0:1]
	s_mov_b32 s57, s19
	s_add_nc_u64 s[66:67], s[74:75], s[66:67]
	s_lshl_b64 s[12:13], s[54:55], 10
	s_lshr_b64 s[20:21], s[28:29], 26
	s_add_nc_u64 s[6:7], s[16:17], s[6:7]
	s_and_b32 s56, s0, 0x3ffffff
	s_lshr_b64 s[0:1], s[0:1], 26
	s_mul_u64 s[40:41], s[40:41], s[18:19]
	s_add_nc_u64 s[12:13], s[66:67], s[12:13]
	s_add_nc_u64 s[20:21], s[6:7], s[20:21]
	s_mul_u64 s[6:7], s[56:57], 0x3d10
	s_add_nc_u64 s[0:1], s[70:71], s[0:1]
	s_mov_b32 s61, s19
	s_add_nc_u64 s[40:41], s[80:81], s[40:41]
	s_lshl_b64 s[16:17], s[56:57], 10
	s_lshr_b64 s[30:31], s[20:21], 26
	s_add_nc_u64 s[6:7], s[12:13], s[6:7]
	s_and_b32 s60, s0, 0x3ffffff
	s_lshr_b64 s[0:1], s[0:1], 26
	s_add_nc_u64 s[12:13], s[40:41], s[16:17]
	s_add_nc_u64 s[6:7], s[6:7], s[30:31]
	s_mul_u64 s[16:17], s[60:61], 0x3d10
	s_add_nc_u64 s[0:1], s[24:25], s[0:1]
	s_mov_b32 s63, s19
	s_add_nc_u64 s[74:75], s[94:95], s[86:87]
	s_lshl_b64 s[30:31], s[60:61], 10
	s_lshr_b64 s[24:25], s[6:7], 26
	s_add_nc_u64 s[12:13], s[12:13], s[16:17]
	s_and_b32 s62, s0, 0x3ffffff
	s_lshr_b64 s[0:1], s[0:1], 26
	s_add_nc_u64 s[16:17], s[74:75], s[30:31]
	s_add_nc_u64 s[52:53], s[12:13], s[24:25]
	s_mul_u64 s[12:13], s[62:63], 0x3d10
	s_add_nc_u64 s[0:1], s[0:1], s[82:83]
	s_mov_b32 s65, s19
	s_lshl_b64 s[24:25], s[62:63], 10
	s_lshr_b64 s[30:31], s[52:53], 26
	s_add_nc_u64 s[12:13], s[16:17], s[12:13]
	s_and_b32 s64, s0, 0x3ffffff
	s_lshr_b64 s[0:1], s[0:1], 26
	s_add_nc_u64 s[8:9], s[8:9], s[24:25]
	s_add_nc_u64 s[44:45], s[12:13], s[30:31]
	s_mul_u64 s[12:13], s[64:65], 0x3d10
	s_add_nc_u64 s[0:1], s[0:1], s[58:59]
	s_lshl_b64 s[16:17], s[64:65], 10
	s_lshr_b64 s[24:25], s[44:45], 26
	s_add_nc_u64 s[8:9], s[8:9], s[12:13]
	s_and_b32 s18, s0, 0x3ffffff
	s_lshr_b64 s[30:31], s[0:1], 26
	s_add_nc_u64 s[0:1], s[2:3], s[16:17]
	s_add_nc_u64 s[12:13], s[8:9], s[24:25]
	s_mul_u64 s[2:3], s[18:19], 0x3d10
	s_and_b64 s[10:11], s[10:11], 0x3fffffe
	s_mul_u64 s[16:17], s[30:31], 0x3d10
	s_lshr_b64 s[24:25], s[12:13], 26
	s_add_nc_u64 s[0:1], s[0:1], s[2:3]
	s_lshl_b64 s[8:9], s[18:19], 10
	s_add_nc_u64 s[2:3], s[16:17], s[10:11]
	s_add_nc_u64 s[42:43], s[0:1], s[24:25]
	;; [unrolled: 1-line block ×3, first 2 shown]
	s_lshr_b64 s[2:3], s[42:43], 26
	s_and_b64 s[16:17], s[22:23], 0x3fffffd
	s_add_nc_u64 s[0:1], s[0:1], s[2:3]
	s_lshl_b64 s[2:3], s[30:31], 14
	s_lshr_b64 s[10:11], s[0:1], 22
	s_mov_b32 s5, s19
	s_add_nc_u64 s[2:3], s[10:11], s[2:3]
	s_and_b32 s4, s26, 0x3ffffff
	s_mul_u64 s[10:11], s[2:3], 0x3d1
	s_lshl_b64 s[2:3], s[2:3], 6
	s_add_nc_u64 s[50:51], s[10:11], s[16:17]
	s_add_nc_u64 s[2:3], s[2:3], s[4:5]
	s_lshr_b64 s[4:5], s[50:51], 26
	s_mov_b32 s9, s19
	s_add_nc_u64 s[4:5], s[2:3], s[4:5]
	s_add_co_i32 s33, s33, -1
	s_and_b32 s8, s28, 0x3ffffff
	s_lshr_b64 s[2:3], s[4:5], 26
	s_cmp_lg_u32 s33, 0
	s_add_nc_u64 s[24:25], s[2:3], s[8:9]
	s_cbranch_scc1 .LBB0_3
; %bb.4:
	v_readlane_b32 s2, v18, 18
	v_readlane_b32 s3, v18, 19
	s_mov_b32 s19, 0
	s_and_b32 s40, s20, 0x3ffffff
	s_mov_b32 s41, s19
	s_and_b32 s100, s2, 0x3ffffff
	v_readlane_b32 s2, v18, 16
	v_readlane_b32 s3, v18, 17
	s_mov_b32 s101, s19
	s_and_b32 s10, s6, 0x3ffffff
	s_mov_b32 s11, s19
	s_and_b32 vcc_lo, s2, 0x3ffffff
	v_readlane_b32 s2, v18, 14
	s_mov_b32 vcc_hi, s19
	s_and_b64 s[98:99], s[14:15], 0x3fffff
	s_mul_u64 s[14:15], s[40:41], s[100:101]
	s_mul_u64 s[20:21], s[10:11], vcc
	s_and_b32 s28, s52, 0x3ffffff
	s_mov_b32 s29, s19
	s_and_b32 s64, s2, 0x3ffffff
	s_mov_b32 s65, s19
	v_readlane_b32 s62, v18, 12
	v_readlane_b32 s63, v18, 13
	s_and_b32 s6, s44, 0x3ffffff
	s_mov_b32 s7, s19
	s_and_b32 s68, s46, 0x3ffffff
	s_mov_b32 s69, s19
	s_mul_u64 s[26:27], s[28:29], s[64:65]
	s_and_b32 s2, s0, 0x3fffff
	s_add_nc_u64 s[0:1], s[20:21], s[14:15]
	s_mul_u64 s[30:31], s[6:7], s[68:69]
	s_and_b32 s12, s12, 0x3ffffff
	s_mov_b32 s13, s19
	s_add_nc_u64 s[0:1], s[0:1], s[26:27]
	s_and_b32 s22, s42, 0x3ffffff
	s_mov_b32 s23, s19
	s_and_b32 s66, s38, 0x3ffffff
	s_mov_b32 s67, s19
	s_mul_u64 s[34:35], s[12:13], s[62:63]
	s_add_nc_u64 s[0:1], s[0:1], s[30:31]
	v_readlane_b32 s3, v18, 15
	s_mul_u64 s[38:39], s[22:23], s[66:67]
	s_mov_b32 s3, s19
	s_and_b32 s70, s36, 0x3ffffff
	s_mov_b32 s71, s19
	s_add_nc_u64 s[0:1], s[0:1], s[34:35]
	v_readlane_b32 s20, v18, 20
	s_and_b64 s[16:17], s[50:51], 0x3ffffff
	s_mul_u64 s[14:15], s[2:3], s[70:71]
	s_add_nc_u64 s[0:1], s[0:1], s[38:39]
	s_and_b32 s18, s4, 0x3ffffff
	s_and_b32 s102, s48, 0x3ffffff
	s_mov_b32 s103, s19
	s_mul_u64 s[4:5], s[16:17], s[98:99]
	s_add_nc_u64 s[0:1], s[0:1], s[14:15]
	s_mul_u64 s[8:9], s[18:19], s[102:103]
	s_and_b32 s72, s20, 0x3ffffff
	s_mov_b32 s73, s19
	s_add_nc_u64 s[0:1], s[0:1], s[4:5]
	s_mul_u64 s[4:5], s[24:25], s[72:73]
	s_add_nc_u64 s[0:1], s[0:1], s[8:9]
	s_mul_u64 s[8:9], s[10:11], s[100:101]
	;; [unrolled: 2-line block ×3, first 2 shown]
	s_mul_u64 s[14:15], s[28:29], vcc
	s_add_nc_u64 s[4:5], s[8:9], s[4:5]
	s_mul_u64 s[8:9], s[6:7], s[64:65]
	s_add_nc_u64 s[4:5], s[4:5], s[14:15]
	s_mul_u64 s[14:15], s[12:13], s[68:69]
	s_add_nc_u64 s[4:5], s[4:5], s[8:9]
	s_mul_u64 s[8:9], s[22:23], s[62:63]
	s_add_nc_u64 s[4:5], s[4:5], s[14:15]
	s_mul_u64 s[14:15], s[2:3], s[66:67]
	s_add_nc_u64 s[4:5], s[4:5], s[8:9]
	s_mul_u64 s[8:9], s[18:19], s[98:99]
	s_add_nc_u64 s[4:5], s[4:5], s[14:15]
	s_mul_u64 s[14:15], s[24:25], s[102:103]
	s_add_nc_u64 s[4:5], s[4:5], s[8:9]
	s_lshr_b64 s[8:9], s[0:1], 26
	s_add_nc_u64 s[4:5], s[4:5], s[14:15]
	v_readlane_b32 s21, v18, 21
	s_add_nc_u64 s[4:5], s[4:5], s[8:9]
	s_mov_b32 s9, s19
	s_and_b32 s8, s4, 0x3ffffff
	s_mul_u64 s[14:15], s[16:17], s[70:71]
	s_mul_u64 s[20:21], s[8:9], 0x3d10
	;; [unrolled: 1-line block ×3, first 2 shown]
	s_add_nc_u64 s[30:31], s[20:21], s[14:15]
	s_mul_u64 s[20:21], s[40:41], s[102:103]
	s_mul_u64 s[34:35], s[28:29], s[100:101]
	s_add_nc_u64 s[20:21], s[26:27], s[20:21]
	s_mul_u64 s[26:27], s[6:7], vcc
	s_add_nc_u64 s[20:21], s[20:21], s[34:35]
	s_mul_u64 s[34:35], s[12:13], s[64:65]
	s_add_nc_u64 s[20:21], s[20:21], s[26:27]
	s_mul_u64 s[26:27], s[22:23], s[68:69]
	;; [unrolled: 2-line block ×4, first 2 shown]
	s_add_nc_u64 s[20:21], s[20:21], s[34:35]
	s_lshr_b64 s[4:5], s[4:5], 26
	s_add_nc_u64 s[20:21], s[20:21], s[26:27]
	s_mul_u64 s[26:27], s[16:17], s[66:67]
	s_add_nc_u64 s[4:5], s[20:21], s[4:5]
	s_mul_u64 s[20:21], s[18:19], s[70:71]
	s_lshl_b64 s[8:9], s[8:9], 10
	s_add_nc_u64 s[20:21], s[20:21], s[26:27]
	s_lshr_b64 s[14:15], s[30:31], 26
	s_and_b32 s34, s4, 0x3ffffff
	s_mov_b32 s35, s19
	s_add_nc_u64 s[8:9], s[20:21], s[8:9]
	s_mul_u64 s[20:21], s[34:35], 0x3d10
	s_add_nc_u64 s[8:9], s[8:9], s[14:15]
	s_mul_u64 s[14:15], s[40:41], s[98:99]
	s_mul_u64 s[26:27], s[10:11], s[102:103]
	s_add_nc_u64 s[20:21], s[8:9], s[20:21]
	s_lshl_b64 s[8:9], s[34:35], 10
	s_mul_u64 s[34:35], s[28:29], s[72:73]
	s_add_nc_u64 s[14:15], s[26:27], s[14:15]
	s_mul_u64 s[26:27], s[6:7], s[100:101]
	s_add_nc_u64 s[14:15], s[14:15], s[34:35]
	s_mul_u64 s[34:35], s[12:13], vcc
	s_add_nc_u64 s[14:15], s[14:15], s[26:27]
	s_mul_u64 s[26:27], s[22:23], s[64:65]
	s_add_nc_u64 s[14:15], s[14:15], s[34:35]
	s_mul_u64 s[34:35], s[2:3], s[68:69]
	s_add_nc_u64 s[14:15], s[14:15], s[26:27]
	s_lshr_b64 s[4:5], s[4:5], 26
	s_mul_u64 s[26:27], s[16:17], s[62:63]
	s_add_nc_u64 s[14:15], s[14:15], s[34:35]
	s_mul_u64 s[34:35], s[18:19], s[66:67]
	s_add_nc_u64 s[4:5], s[14:15], s[4:5]
	;; [unrolled: 2-line block ×3, first 2 shown]
	s_and_b32 s38, s4, 0x3ffffff
	s_mov_b32 s39, s19
	s_add_nc_u64 s[14:15], s[26:27], s[14:15]
	s_mul_u64 s[26:27], s[38:39], 0x3d10
	s_add_nc_u64 s[8:9], s[14:15], s[8:9]
	s_lshr_b64 s[14:15], s[20:21], 26
	s_add_nc_u64 s[8:9], s[8:9], s[26:27]
	s_mul_u64 s[34:35], s[10:11], s[98:99]
	s_add_nc_u64 s[36:37], s[8:9], s[14:15]
	s_lshl_b64 s[8:9], s[38:39], 10
	s_mul_u64 s[38:39], s[28:29], s[102:103]
	s_mul_u64 s[42:43], s[6:7], s[72:73]
	s_add_nc_u64 s[34:35], s[38:39], s[34:35]
	s_mul_u64 s[38:39], s[12:13], s[100:101]
	s_add_nc_u64 s[34:35], s[34:35], s[42:43]
	s_mul_u64 s[42:43], s[22:23], vcc
	s_add_nc_u64 s[34:35], s[34:35], s[38:39]
	s_mul_u64 s[38:39], s[2:3], s[64:65]
	s_add_nc_u64 s[34:35], s[34:35], s[42:43]
	s_mul_u64 s[14:15], s[16:17], s[68:69]
	s_add_nc_u64 s[34:35], s[34:35], s[38:39]
	s_mul_u64 s[38:39], s[40:41], s[70:71]
	s_lshr_b64 s[4:5], s[4:5], 26
	s_mul_u64 s[26:27], s[18:19], s[62:63]
	s_add_nc_u64 s[14:15], s[14:15], s[38:39]
	s_mul_u64 s[42:43], s[24:25], s[66:67]
	s_add_nc_u64 s[4:5], s[34:35], s[4:5]
	s_add_nc_u64 s[14:15], s[14:15], s[26:27]
	s_mul_u64 s[44:45], s[28:29], s[98:99]
	s_mul_u64 s[48:49], s[6:7], s[102:103]
	s_and_b32 s34, s4, 0x3ffffff
	s_mov_b32 s35, s19
	s_add_nc_u64 s[14:15], s[14:15], s[42:43]
	s_mul_u64 s[50:51], s[12:13], s[72:73]
	s_add_nc_u64 s[44:45], s[48:49], s[44:45]
	s_mul_u64 s[26:27], s[34:35], 0x3d10
	;; [unrolled: 2-line block ×3, first 2 shown]
	s_add_nc_u64 s[44:45], s[44:45], s[50:51]
	s_lshr_b64 s[14:15], s[36:37], 26
	s_add_nc_u64 s[8:9], s[8:9], s[26:27]
	s_mul_u64 s[42:43], s[40:41], s[66:67]
	s_add_nc_u64 s[44:45], s[44:45], s[48:49]
	s_mul_u64 s[48:49], s[10:11], s[70:71]
	s_lshr_b64 s[26:27], s[4:5], 26
	s_add_nc_u64 s[4:5], s[8:9], s[14:15]
	s_mul_u64 s[14:15], s[16:17], s[64:65]
	s_mul_u64 s[50:51], s[2:3], vcc
	s_add_nc_u64 s[42:43], s[48:49], s[42:43]
	s_lshl_b64 s[8:9], s[34:35], 10
	s_mul_u64 s[34:35], s[18:19], s[68:69]
	s_add_nc_u64 s[44:45], s[44:45], s[50:51]
	s_add_nc_u64 s[14:15], s[42:43], s[14:15]
	s_mul_u64 s[38:39], s[24:25], s[62:63]
	s_add_nc_u64 s[26:27], s[44:45], s[26:27]
	s_add_nc_u64 s[14:15], s[14:15], s[34:35]
	s_and_b32 s42, s26, 0x3ffffff
	s_mov_b32 s43, s19
	s_add_nc_u64 s[14:15], s[14:15], s[38:39]
	s_mul_u64 s[44:45], s[40:41], s[62:63]
	s_mul_u64 s[48:49], s[10:11], s[66:67]
	;; [unrolled: 1-line block ×5, first 2 shown]
	s_add_nc_u64 s[8:9], s[14:15], s[8:9]
	s_mul_u64 s[50:51], s[28:29], s[70:71]
	s_mul_u64 s[56:57], s[22:23], s[72:73]
	s_add_nc_u64 s[52:53], s[54:55], s[52:53]
	s_add_nc_u64 s[44:45], s[48:49], s[44:45]
	;; [unrolled: 1-line block ×3, first 2 shown]
	s_mul_u64 s[34:35], s[16:17], vcc
	s_mul_u64 s[54:55], s[2:3], s[100:101]
	s_add_nc_u64 s[52:53], s[52:53], s[56:57]
	s_add_nc_u64 s[44:45], s[44:45], s[50:51]
	s_lshr_b64 s[14:15], s[4:5], 26
	s_lshr_b64 s[26:27], s[26:27], 26
	s_mul_u64 s[38:39], s[18:19], s[64:65]
	s_add_nc_u64 s[48:49], s[52:53], s[54:55]
	s_add_nc_u64 s[34:35], s[44:45], s[34:35]
	;; [unrolled: 1-line block ×3, first 2 shown]
	s_lshl_b64 s[8:9], s[42:43], 10
	s_mul_u64 s[42:43], s[24:25], s[68:69]
	s_add_nc_u64 s[26:27], s[48:49], s[26:27]
	s_add_nc_u64 s[34:35], s[34:35], s[38:39]
	s_mul_u64 s[48:49], s[40:41], s[68:69]
	s_mul_u64 s[50:51], s[10:11], s[62:63]
	s_and_b32 s44, s26, 0x3ffffff
	s_mov_b32 s45, s19
	s_add_nc_u64 s[34:35], s[34:35], s[42:43]
	s_mul_u64 s[52:53], s[28:29], s[66:67]
	s_add_nc_u64 s[48:49], s[50:51], s[48:49]
	s_mul_u64 s[38:39], s[44:45], 0x3d10
	s_add_nc_u64 s[8:9], s[34:35], s[8:9]
	s_mul_u64 s[54:55], s[6:7], s[70:71]
	s_mul_u64 s[56:57], s[12:13], s[98:99]
	s_mul_u64 s[58:59], s[22:23], s[102:103]
	s_add_nc_u64 s[48:49], s[48:49], s[52:53]
	s_add_nc_u64 s[8:9], s[8:9], s[38:39]
	s_mul_u64 s[38:39], s[16:17], s[100:101]
	s_mul_u64 s[60:61], s[2:3], s[72:73]
	s_add_nc_u64 s[50:51], s[58:59], s[56:57]
	s_add_nc_u64 s[48:49], s[48:49], s[54:55]
	s_lshr_b64 s[34:35], s[14:15], 26
	s_lshr_b64 s[26:27], s[26:27], 26
	s_mul_u64 s[42:43], s[18:19], vcc
	s_add_nc_u64 s[50:51], s[50:51], s[60:61]
	s_add_nc_u64 s[38:39], s[48:49], s[38:39]
	;; [unrolled: 1-line block ×3, first 2 shown]
	s_lshl_b64 s[8:9], s[44:45], 10
	s_mul_u64 s[44:45], s[24:25], s[64:65]
	s_add_nc_u64 s[26:27], s[50:51], s[26:27]
	s_add_nc_u64 s[38:39], s[38:39], s[42:43]
	s_and_b32 s48, s26, 0x3ffffff
	s_mov_b32 s49, s19
	s_add_nc_u64 s[38:39], s[38:39], s[44:45]
	s_mul_u64 s[42:43], s[48:49], 0x3d10
	s_add_nc_u64 s[8:9], s[38:39], s[8:9]
	s_mul_u64 s[50:51], s[40:41], s[64:65]
	;; [unrolled: 2-line block ×3, first 2 shown]
	v_writelane_b32 v18, s72, 22
	s_mul_u64 s[52:53], s[10:11], s[68:69]
	s_mul_u64 s[54:55], s[28:29], s[62:63]
	s_add_nc_u64 s[50:51], s[52:53], s[50:51]
	s_mul_u64 s[56:57], s[6:7], s[66:67]
	v_writelane_b32 v18, s73, 23
	s_add_nc_u64 s[50:51], s[50:51], s[54:55]
	s_mul_u64 s[58:59], s[12:13], s[70:71]
	s_add_nc_u64 s[50:51], s[50:51], s[56:57]
	s_mul_u64 s[52:53], s[22:23], s[98:99]
	v_writelane_b32 v18, s64, 14
	s_mul_u64 s[54:55], s[2:3], s[102:103]
	s_add_nc_u64 s[50:51], s[50:51], s[58:59]
	s_mul_u64 s[40:41], s[40:41], vcc
	s_mul_u64 s[10:11], s[10:11], s[64:65]
	v_writelane_b32 v18, s65, 15
	s_lshr_b64 s[38:39], s[34:35], 26
	s_lshr_b64 s[26:27], s[26:27], 26
	s_mul_u64 s[44:45], s[18:19], s[100:101]
	s_add_nc_u64 s[52:53], s[54:55], s[52:53]
	v_writelane_b32 v18, s68, 20
	s_add_nc_u64 s[42:43], s[50:51], s[42:43]
	s_mul_u64 s[28:29], s[28:29], s[68:69]
	s_add_nc_u64 s[10:11], s[10:11], s[40:41]
	s_add_nc_u64 s[8:9], s[8:9], s[38:39]
	v_writelane_b32 v18, s69, 21
	s_lshl_b64 s[38:39], s[48:49], 10
	s_mul_u64 s[48:49], s[24:25], vcc
	s_add_nc_u64 s[26:27], s[52:53], s[26:27]
	s_add_nc_u64 s[42:43], s[42:43], s[44:45]
	v_writelane_b32 v18, s66, 16
	s_mul_u64 s[6:7], s[6:7], s[62:63]
	s_add_nc_u64 s[10:11], s[10:11], s[28:29]
	s_and_b32 s50, s26, 0x3ffffff
	s_mov_b32 s51, s19
	v_writelane_b32 v18, s67, 17
	s_add_nc_u64 s[42:43], s[42:43], s[48:49]
	s_mul_u64 s[12:13], s[12:13], s[66:67]
	s_add_nc_u64 s[6:7], s[10:11], s[6:7]
	s_mul_u64 s[44:45], s[50:51], 0x3d10
	s_add_nc_u64 s[38:39], s[42:43], s[38:39]
	v_writelane_b32 v18, s70, 18
	s_mul_u64 s[10:11], s[22:23], s[70:71]
	s_add_nc_u64 s[6:7], s[6:7], s[12:13]
	s_lshr_b64 s[42:43], s[8:9], 26
	s_add_nc_u64 s[38:39], s[38:39], s[44:45]
	s_mul_u64 s[16:17], s[16:17], s[102:103]
	s_add_nc_u64 s[6:7], s[6:7], s[10:11]
	s_lshr_b64 s[44:45], s[26:27], 26
	s_add_nc_u64 s[26:27], s[38:39], s[42:43]
	s_mul_u64 s[42:43], s[18:19], s[72:73]
	s_mul_u64 s[2:3], s[2:3], s[98:99]
	s_add_nc_u64 s[6:7], s[6:7], s[16:17]
	s_mul_u64 s[12:13], s[24:25], s[100:101]
	s_add_nc_u64 s[2:3], s[44:45], s[2:3]
	s_add_nc_u64 s[6:7], s[6:7], s[42:43]
	s_lshl_b64 s[38:39], s[50:51], 10
	s_and_b32 s18, s2, 0x3ffffff
	s_add_nc_u64 s[6:7], s[6:7], s[12:13]
	s_mul_u64 s[10:11], s[18:19], 0x3d10
	s_add_nc_u64 s[6:7], s[6:7], s[38:39]
	s_lshr_b64 s[12:13], s[26:27], 26
	s_add_nc_u64 s[6:7], s[6:7], s[10:11]
	s_lshr_b64 s[2:3], s[2:3], 26
	s_and_b32 s0, s0, 0x3ffffff
	s_mov_b32 s1, s19
	s_add_nc_u64 s[12:13], s[6:7], s[12:13]
	s_mul_u64 s[6:7], s[2:3], 0x3d10
	s_lshl_b64 s[10:11], s[18:19], 10
	s_add_nc_u64 s[0:1], s[6:7], s[0:1]
	s_lshr_b64 s[6:7], s[12:13], 26
	s_add_nc_u64 s[0:1], s[0:1], s[10:11]
	s_lshl_b64 s[2:3], s[2:3], 14
	s_add_nc_u64 s[24:25], s[0:1], s[6:7]
	s_and_b32 s0, s30, 0x3ffffff
	s_lshr_b64 s[6:7], s[24:25], 22
	s_mov_b32 s1, s19
	s_add_nc_u64 s[2:3], s[6:7], s[2:3]
	s_and_b32 s6, s20, 0x3ffffff
	s_mul_u64 s[10:11], s[2:3], 0x3d1
	s_mov_b32 s7, s19
	s_add_nc_u64 s[28:29], s[10:11], s[0:1]
	s_lshl_b64 s[0:1], s[2:3], 6
	s_lshr_b64 s[2:3], s[28:29], 26
	s_add_nc_u64 s[0:1], s[0:1], s[6:7]
	s_and_b32 s6, s36, 0x3ffffff
	s_add_nc_u64 s[20:21], s[0:1], s[2:3]
	s_mov_b32 s33, 3
	s_lshr_b64 s[0:1], s[20:21], 26
	v_writelane_b32 v18, s71, 19
	s_add_nc_u64 s[22:23], s[0:1], s[6:7]
.LBB0_5:                                ; =>This Inner Loop Header: Depth=1
	s_lshl_b32 s36, s4, 1
	s_lshl_b32 s40, s14, 1
	s_and_b64 s[0:1], s[24:25], 0x3fffff
	s_lshl_b32 s6, s28, 1
	s_lshl_b32 s30, s20, 1
	s_and_b32 s2, s12, 0x3ffffff
	s_lshl_b32 s38, s22, 1
	s_mov_b32 s39, s19
	s_mov_b32 s13, s19
	s_and_b32 s16, s8, 0x3ffffff
	s_mov_b32 s17, s19
	s_mov_b32 s15, s19
	s_and_b32 s24, s34, 0x3ffffff
	s_mov_b32 s25, s19
	s_and_b64 s[50:51], s[28:29], 0x3ffffff
	s_and_b32 s28, s20, 0x3ffffff
	s_lshl_b32 s20, s34, 1
	s_and_b32 s52, s4, 0x3ffffff
	s_mov_b32 s53, s19
	s_and_b32 s48, s14, 0x3ffffff
	s_mov_b32 s49, s19
	s_lshl_b32 s34, s12, 1
	s_and_b32 s12, s36, 0x7fffffe
	s_and_b32 s14, s40, 0x7fffffe
	;; [unrolled: 1-line block ×3, first 2 shown]
	s_mov_b32 s11, s19
	s_mov_b32 s31, s19
	s_and_b32 s4, s30, 0x7fffffe
	s_and_b32 s30, s20, 0x7fffffe
	s_mul_u64 s[78:79], s[48:49], s[38:39]
	s_mul_u64 s[80:81], s[52:53], s[52:53]
	s_mul_u64 s[90:91], s[16:17], s[12:13]
	s_mul_u64 s[92:93], s[14:15], s[24:25]
	s_mov_b32 s29, s19
	s_lshl_b32 s8, s8, 1
	s_and_b32 s18, s6, 0x7fffffe
	s_mul_u64 s[66:67], s[24:25], s[24:25]
	s_mul_u64 s[94:95], s[16:17], s[14:15]
	s_add_nc_u64 s[78:79], s[78:79], s[80:81]
	s_mul_u64 s[80:81], s[10:11], s[14:15]
	s_add_nc_u64 s[90:91], s[90:91], s[92:93]
	s_mul_u64 s[92:93], s[30:31], s[16:17]
	s_mov_b32 s3, s19
	s_mov_b32 s55, s19
	s_mul_u64 s[70:71], s[28:29], s[28:29]
	s_mul_u64 s[72:73], s[16:17], s[16:17]
	s_and_b32 s54, s8, 0x7fffffe
	s_add_nc_u64 s[94:95], s[94:95], s[66:67]
	s_mul_u64 s[66:67], s[10:11], s[30:31]
	s_add_nc_u64 s[80:81], s[80:81], s[92:93]
	s_mul_u64 s[92:93], s[18:19], s[22:23]
	s_mov_b32 s5, s19
	s_add_nc_u64 s[72:73], s[66:67], s[72:73]
	s_mul_u64 s[66:67], s[2:3], s[30:31]
	s_add_nc_u64 s[70:71], s[92:93], s[70:71]
	s_mul_u64 s[92:93], s[54:55], s[10:11]
	s_mul_u64 s[56:57], s[22:23], s[22:23]
	s_lshl_b32 s26, s26, 1
	s_add_nc_u64 s[92:93], s[66:67], s[92:93]
	s_mul_u64 s[66:67], s[52:53], s[18:19]
	s_mul_u64 s[22:23], s[4:5], s[22:23]
	s_mov_b32 s63, s19
	s_mul_u64 s[74:75], s[10:11], s[10:11]
	s_and_b32 s62, s26, 0x7fffffe
	s_add_nc_u64 s[66:67], s[66:67], s[22:23]
	s_mul_u64 s[22:23], s[2:3], s[54:55]
	s_mul_u64 s[76:77], s[38:39], s[52:53]
	;; [unrolled: 1-line block ×4, first 2 shown]
	s_add_nc_u64 s[74:75], s[22:23], s[74:75]
	s_mul_u64 s[22:23], s[62:63], s[2:3]
	s_add_nc_u64 s[56:57], s[52:53], s[56:57]
	s_add_nc_u64 s[52:53], s[54:55], s[22:23]
	s_mul_u64 s[22:23], s[48:49], s[4:5]
	s_mul_u64 s[68:69], s[10:11], s[38:39]
	;; [unrolled: 1-line block ×4, first 2 shown]
	s_add_nc_u64 s[62:63], s[22:23], s[76:77]
	s_mul_u64 s[76:77], s[24:25], s[4:5]
	s_mov_b32 s65, s19
	s_mul_u64 s[84:85], s[24:25], s[38:39]
	s_and_b32 s64, s34, 0x7fffffe
	s_mul_u64 s[88:89], s[48:49], s[48:49]
	s_add_nc_u64 s[22:23], s[54:55], s[82:83]
	s_mul_u64 s[54:55], s[12:13], s[48:49]
	s_add_nc_u64 s[76:77], s[78:79], s[76:77]
	;; [unrolled: 2-line block ×3, first 2 shown]
	s_mul_u64 s[90:91], s[2:3], s[12:13]
	s_mul_u64 s[58:59], s[2:3], s[38:39]
	;; [unrolled: 1-line block ×6, first 2 shown]
	s_add_nc_u64 s[54:55], s[84:85], s[54:55]
	s_mul_u64 s[82:83], s[2:3], s[4:5]
	s_add_nc_u64 s[78:79], s[78:79], s[88:89]
	s_mul_u64 s[84:85], s[0:1], s[4:5]
	s_mul_u64 s[88:89], s[10:11], s[12:13]
	;; [unrolled: 1-line block ×8, first 2 shown]
	s_add_nc_u64 s[80:81], s[80:81], s[90:91]
	s_mul_u64 s[90:91], s[16:17], s[18:19]
	s_mul_u64 s[16:17], s[16:17], s[4:5]
	s_add_nc_u64 s[88:89], s[94:95], s[88:89]
	s_mul_u64 s[4:5], s[10:11], s[4:5]
	s_add_nc_u64 s[14:15], s[72:73], s[14:15]
	s_add_nc_u64 s[24:25], s[62:63], s[24:25]
	;; [unrolled: 1-line block ×5, first 2 shown]
	s_mul_u64 s[10:11], s[10:11], s[18:19]
	s_mul_u64 s[2:3], s[2:3], s[18:19]
	s_add_nc_u64 s[58:59], s[88:89], s[58:59]
	s_add_nc_u64 s[12:13], s[14:15], s[12:13]
	;; [unrolled: 1-line block ×7, first 2 shown]
	s_lshr_b64 s[4:5], s[14:15], 26
	s_mov_b32 s9, s19
	s_add_nc_u64 s[4:5], s[16:17], s[4:5]
	s_add_nc_u64 s[60:61], s[80:81], s[60:61]
	s_and_b32 s8, s4, 0x3ffffff
	s_lshr_b64 s[4:5], s[4:5], 26
	s_mul_u64 s[50:51], s[50:51], s[50:51]
	s_and_b64 s[54:55], s[14:15], 0x3fffffe
	s_mul_u64 s[14:15], s[8:9], 0x3d10
	s_add_nc_u64 s[4:5], s[60:61], s[4:5]
	s_mul_u64 s[28:29], s[18:19], s[28:29]
	s_lshl_b64 s[8:9], s[8:9], 10
	s_add_nc_u64 s[16:17], s[14:15], s[50:51]
	s_and_b32 s26, s4, 0x3ffffff
	s_lshr_b64 s[4:5], s[4:5], 26
	s_mov_b32 s27, s19
	s_add_nc_u64 s[8:9], s[8:9], s[28:29]
	s_lshr_b64 s[14:15], s[16:17], 26
	s_add_nc_u64 s[4:5], s[12:13], s[4:5]
	s_mov_b32 s21, s19
	s_add_nc_u64 s[0:1], s[92:93], s[0:1]
	s_mul_u64 s[28:29], s[26:27], 0x3d10
	s_lshl_b64 s[26:27], s[26:27], 10
	s_add_nc_u64 s[8:9], s[8:9], s[14:15]
	s_and_b32 s20, s4, 0x3ffffff
	s_lshr_b64 s[4:5], s[4:5], 26
	s_add_nc_u64 s[12:13], s[70:71], s[26:27]
	s_add_nc_u64 s[28:29], s[8:9], s[28:29]
	s_mul_u64 s[8:9], s[20:21], 0x3d10
	s_add_nc_u64 s[0:1], s[0:1], s[4:5]
	s_mov_b32 s35, s19
	s_add_nc_u64 s[30:31], s[74:75], s[30:31]
	s_lshl_b64 s[14:15], s[20:21], 10
	s_lshr_b64 s[4:5], s[28:29], 26
	s_add_nc_u64 s[8:9], s[12:13], s[8:9]
	s_and_b32 s34, s0, 0x3ffffff
	s_lshr_b64 s[0:1], s[0:1], 26
	s_mul_u64 s[48:49], s[48:49], s[18:19]
	s_add_nc_u64 s[12:13], s[66:67], s[14:15]
	s_add_nc_u64 s[50:51], s[8:9], s[4:5]
	s_mul_u64 s[4:5], s[34:35], 0x3d10
	s_add_nc_u64 s[0:1], s[30:31], s[0:1]
	s_mov_b32 s37, s19
	s_add_nc_u64 s[48:49], s[56:57], s[48:49]
	s_lshl_b64 s[8:9], s[34:35], 10
	s_lshr_b64 s[14:15], s[50:51], 26
	s_add_nc_u64 s[4:5], s[12:13], s[4:5]
	s_and_b32 s36, s0, 0x3ffffff
	s_lshr_b64 s[0:1], s[0:1], 26
	s_add_nc_u64 s[8:9], s[48:49], s[8:9]
	s_add_nc_u64 s[4:5], s[4:5], s[14:15]
	s_mul_u64 s[12:13], s[36:37], 0x3d10
	s_add_nc_u64 s[0:1], s[52:53], s[0:1]
	s_mov_b32 s41, s19
	s_lshl_b64 s[14:15], s[36:37], 10
	s_lshr_b64 s[20:21], s[4:5], 26
	s_add_nc_u64 s[8:9], s[8:9], s[12:13]
	s_and_b32 s40, s0, 0x3ffffff
	s_lshr_b64 s[0:1], s[0:1], 26
	s_add_nc_u64 s[12:13], s[24:25], s[14:15]
	s_add_nc_u64 s[14:15], s[8:9], s[20:21]
	s_mul_u64 s[8:9], s[40:41], 0x3d10
	s_add_nc_u64 s[0:1], s[22:23], s[0:1]
	s_mov_b32 s43, s19
	s_add_nc_u64 s[56:57], s[76:77], s[90:91]
	s_lshl_b64 s[20:21], s[40:41], 10
	s_lshr_b64 s[22:23], s[14:15], 26
	s_add_nc_u64 s[8:9], s[12:13], s[8:9]
	s_and_b32 s42, s0, 0x3ffffff
	s_lshr_b64 s[0:1], s[0:1], 26
	s_add_nc_u64 s[12:13], s[56:57], s[20:21]
	s_add_nc_u64 s[34:35], s[8:9], s[22:23]
	s_mul_u64 s[8:9], s[42:43], 0x3d10
	s_add_nc_u64 s[0:1], s[0:1], s[64:65]
	s_mov_b32 s45, s19
	s_lshl_b64 s[20:21], s[42:43], 10
	s_lshr_b64 s[22:23], s[34:35], 26
	s_add_nc_u64 s[8:9], s[12:13], s[8:9]
	s_and_b32 s44, s0, 0x3ffffff
	s_lshr_b64 s[0:1], s[0:1], 26
	s_add_nc_u64 s[10:11], s[10:11], s[20:21]
	s_add_nc_u64 s[8:9], s[8:9], s[22:23]
	s_mul_u64 s[12:13], s[44:45], 0x3d10
	s_add_nc_u64 s[0:1], s[0:1], s[38:39]
	s_lshl_b64 s[20:21], s[44:45], 10
	s_lshr_b64 s[22:23], s[8:9], 26
	s_add_nc_u64 s[10:11], s[10:11], s[12:13]
	s_and_b32 s18, s0, 0x3ffffff
	s_lshr_b64 s[0:1], s[0:1], 26
	s_add_nc_u64 s[2:3], s[2:3], s[20:21]
	s_add_nc_u64 s[26:27], s[10:11], s[22:23]
	s_mul_u64 s[10:11], s[18:19], 0x3d10
	s_mul_u64 s[12:13], s[0:1], 0x3d10
	s_lshr_b64 s[22:23], s[26:27], 26
	s_add_nc_u64 s[2:3], s[2:3], s[10:11]
	s_lshl_b64 s[20:21], s[18:19], 10
	s_add_nc_u64 s[10:11], s[12:13], s[54:55]
	s_add_nc_u64 s[12:13], s[2:3], s[22:23]
	;; [unrolled: 1-line block ×3, first 2 shown]
	s_lshr_b64 s[10:11], s[12:13], 26
	s_lshl_b64 s[0:1], s[0:1], 14
	s_add_nc_u64 s[24:25], s[2:3], s[10:11]
	s_and_b64 s[10:11], s[16:17], 0x3fffffd
	s_lshr_b64 s[2:3], s[24:25], 22
	s_mov_b32 s7, s19
	s_add_nc_u64 s[0:1], s[2:3], s[0:1]
	s_and_b32 s6, s28, 0x3ffffff
	s_mul_u64 s[2:3], s[0:1], 0x3d1
	s_lshl_b64 s[0:1], s[0:1], 6
	s_add_nc_u64 s[28:29], s[2:3], s[10:11]
	s_add_nc_u64 s[0:1], s[0:1], s[6:7]
	s_lshr_b64 s[2:3], s[28:29], 26
	s_mov_b32 s23, s19
	s_add_nc_u64 s[20:21], s[0:1], s[2:3]
	s_add_co_i32 s33, s33, -1
	s_and_b32 s22, s50, 0x3ffffff
	s_lshr_b64 s[0:1], s[20:21], 26
	s_cmp_lg_u32 s33, 0
	s_add_nc_u64 s[22:23], s[0:1], s[22:23]
	s_cbranch_scc1 .LBB0_5
; %bb.6:
	s_mov_b32 s19, 0
	v_readlane_b32 s64, v18, 14
	v_readlane_b32 s65, v18, 15
	s_and_b32 s2, s4, 0x3ffffff
	s_mov_b32 s3, s19
	s_and_b32 s10, s14, 0x3ffffff
	s_mov_b32 s11, s19
	v_readlane_b32 s68, v18, 20
	v_readlane_b32 s69, v18, 21
	s_and_b64 s[6:7], s[28:29], 0x3ffffff
	s_mul_u64 s[28:29], s[2:3], s[100:101]
	s_and_b32 s16, s34, 0x3ffffff
	s_mov_b32 s17, s19
	s_mul_u64 s[14:15], s[10:11], vcc
	v_readlane_b32 s62, v18, 12
	v_readlane_b32 s63, v18, 13
	s_mul_u64 s[30:31], s[16:17], s[64:65]
	s_and_b32 s8, s8, 0x3ffffff
	s_mov_b32 s9, s19
	s_add_nc_u64 s[14:15], s[14:15], s[28:29]
	v_readlane_b32 s66, v18, 16
	v_readlane_b32 s67, v18, 17
	s_and_b32 s0, s26, 0x3ffffff
	s_mov_b32 s1, s19
	s_mul_u64 s[26:27], s[8:9], s[68:69]
	s_add_nc_u64 s[14:15], s[14:15], s[30:31]
	v_readlane_b32 s70, v18, 18
	v_readlane_b32 s71, v18, 19
	s_mul_u64 s[34:35], s[0:1], s[62:63]
	s_and_b32 s12, s12, 0x3ffffff
	s_mov_b32 s13, s19
	s_add_nc_u64 s[14:15], s[14:15], s[26:27]
	s_mul_u64 s[28:29], s[12:13], s[66:67]
	s_and_b64 s[24:25], s[24:25], 0x3fffff
	s_add_nc_u64 s[14:15], s[14:15], s[34:35]
	s_mul_u64 s[26:27], s[24:25], s[70:71]
	s_add_nc_u64 s[14:15], s[14:15], s[28:29]
	v_readlane_b32 s72, v18, 22
	v_readlane_b32 s73, v18, 23
	s_mul_u64 s[4:5], s[6:7], s[98:99]
	s_and_b32 s18, s20, 0x3ffffff
	s_add_nc_u64 s[14:15], s[14:15], s[26:27]
	s_mul_u64 s[20:21], s[18:19], s[102:103]
	s_add_nc_u64 s[4:5], s[14:15], s[4:5]
	s_mul_u64 s[14:15], s[22:23], s[72:73]
	;; [unrolled: 2-line block ×4, first 2 shown]
	s_mul_u64 s[26:27], s[16:17], vcc
	s_add_nc_u64 s[14:15], s[20:21], s[14:15]
	s_mul_u64 s[20:21], s[8:9], s[64:65]
	s_add_nc_u64 s[14:15], s[14:15], s[26:27]
	s_mul_u64 s[26:27], s[0:1], s[68:69]
	;; [unrolled: 2-line block ×3, first 2 shown]
	s_mul_u64 s[34:35], s[10:11], s[72:73]
	s_mul_u64 s[20:21], s[12:13], s[62:63]
	s_add_nc_u64 s[14:15], s[14:15], s[26:27]
	s_mul_u64 s[36:37], s[16:17], s[100:101]
	s_add_nc_u64 s[30:31], s[34:35], s[30:31]
	;; [unrolled: 2-line block ×3, first 2 shown]
	s_mul_u64 s[34:35], s[8:9], vcc
	s_add_nc_u64 s[30:31], s[30:31], s[36:37]
	s_mul_u64 s[20:21], s[18:19], s[98:99]
	s_add_nc_u64 s[14:15], s[14:15], s[26:27]
	s_mul_u64 s[36:37], s[0:1], s[64:65]
	;; [unrolled: 2-line block ×4, first 2 shown]
	s_add_nc_u64 s[30:31], s[30:31], s[36:37]
	s_lshr_b64 s[20:21], s[4:5], 26
	s_add_nc_u64 s[14:15], s[14:15], s[26:27]
	s_mul_u64 s[36:37], s[24:25], s[62:63]
	s_add_nc_u64 s[30:31], s[30:31], s[34:35]
	s_add_nc_u64 s[14:15], s[14:15], s[20:21]
	s_mul_u64 s[34:35], s[22:23], s[98:99]
	s_add_nc_u64 s[30:31], s[30:31], s[36:37]
	s_and_b32 s26, s4, 0x3ffffff
	s_and_b32 s4, s14, 0x3ffffff
	s_mov_b32 s5, s19
	s_lshr_b64 s[14:15], s[14:15], 26
	s_add_nc_u64 s[30:31], s[30:31], s[34:35]
	s_mul_u64 s[20:21], s[6:7], s[70:71]
	s_mul_u64 s[28:29], s[4:5], 0x3d10
	;; [unrolled: 1-line block ×3, first 2 shown]
	s_add_nc_u64 s[14:15], s[30:31], s[14:15]
	s_mul_u64 s[30:31], s[18:19], s[70:71]
	s_add_nc_u64 s[28:29], s[28:29], s[20:21]
	s_lshl_b64 s[4:5], s[4:5], 10
	s_add_nc_u64 s[30:31], s[30:31], s[34:35]
	s_lshr_b64 s[20:21], s[28:29], 26
	s_and_b32 s36, s14, 0x3ffffff
	s_mov_b32 s37, s19
	s_add_nc_u64 s[4:5], s[30:31], s[4:5]
	s_mul_u64 s[30:31], s[36:37], 0x3d10
	s_add_nc_u64 s[4:5], s[4:5], s[20:21]
	s_mul_u64 s[34:35], s[10:11], s[102:103]
	s_add_nc_u64 s[20:21], s[4:5], s[30:31]
	s_mul_u64 s[30:31], s[2:3], s[98:99]
	s_lshl_b64 s[4:5], s[36:37], 10
	s_mul_u64 s[36:37], s[16:17], s[72:73]
	s_add_nc_u64 s[30:31], s[34:35], s[30:31]
	s_mul_u64 s[34:35], s[8:9], s[100:101]
	s_add_nc_u64 s[30:31], s[30:31], s[36:37]
	s_mul_u64 s[36:37], s[0:1], vcc
	s_add_nc_u64 s[30:31], s[30:31], s[34:35]
	s_mul_u64 s[34:35], s[12:13], s[64:65]
	s_add_nc_u64 s[30:31], s[30:31], s[36:37]
	s_mul_u64 s[36:37], s[24:25], s[68:69]
	s_add_nc_u64 s[30:31], s[30:31], s[34:35]
	s_lshr_b64 s[14:15], s[14:15], 26
	s_mul_u64 s[34:35], s[6:7], s[62:63]
	s_add_nc_u64 s[30:31], s[30:31], s[36:37]
	s_mul_u64 s[36:37], s[18:19], s[66:67]
	s_add_nc_u64 s[14:15], s[30:31], s[14:15]
	;; [unrolled: 2-line block ×3, first 2 shown]
	s_and_b32 s40, s14, 0x3ffffff
	s_mov_b32 s41, s19
	s_add_nc_u64 s[30:31], s[34:35], s[30:31]
	s_mul_u64 s[34:35], s[40:41], 0x3d10
	s_add_nc_u64 s[4:5], s[30:31], s[4:5]
	s_lshr_b64 s[30:31], s[20:21], 26
	s_add_nc_u64 s[4:5], s[4:5], s[34:35]
	s_mul_u64 s[36:37], s[10:11], s[98:99]
	s_add_nc_u64 s[38:39], s[4:5], s[30:31]
	s_lshl_b64 s[4:5], s[40:41], 10
	s_mul_u64 s[40:41], s[16:17], s[102:103]
	s_mul_u64 s[42:43], s[8:9], s[72:73]
	s_add_nc_u64 s[36:37], s[40:41], s[36:37]
	s_mul_u64 s[40:41], s[0:1], s[100:101]
	s_add_nc_u64 s[36:37], s[36:37], s[42:43]
	s_mul_u64 s[42:43], s[12:13], vcc
	s_add_nc_u64 s[36:37], s[36:37], s[40:41]
	s_mul_u64 s[40:41], s[24:25], s[64:65]
	s_add_nc_u64 s[36:37], s[36:37], s[42:43]
	s_mul_u64 s[30:31], s[6:7], s[68:69]
	;; [unrolled: 2-line block ×3, first 2 shown]
	s_lshr_b64 s[14:15], s[14:15], 26
	s_mul_u64 s[34:35], s[18:19], s[62:63]
	s_add_nc_u64 s[30:31], s[30:31], s[40:41]
	s_mul_u64 s[44:45], s[16:17], s[98:99]
	s_mul_u64 s[48:49], s[8:9], s[102:103]
	;; [unrolled: 1-line block ×3, first 2 shown]
	s_add_nc_u64 s[14:15], s[36:37], s[14:15]
	s_add_nc_u64 s[30:31], s[30:31], s[34:35]
	s_mul_u64 s[50:51], s[0:1], s[72:73]
	s_add_nc_u64 s[44:45], s[48:49], s[44:45]
	s_and_b32 s36, s14, 0x3ffffff
	s_mov_b32 s37, s19
	s_add_nc_u64 s[30:31], s[30:31], s[42:43]
	s_mul_u64 s[48:49], s[12:13], s[100:101]
	s_add_nc_u64 s[44:45], s[44:45], s[50:51]
	s_mul_u64 s[34:35], s[36:37], 0x3d10
	;; [unrolled: 2-line block ×4, first 2 shown]
	s_lshr_b64 s[30:31], s[38:39], 26
	s_add_nc_u64 s[4:5], s[4:5], s[34:35]
	s_mul_u64 s[34:35], s[6:7], s[64:65]
	s_mul_u64 s[50:51], s[24:25], vcc
	s_add_nc_u64 s[42:43], s[48:49], s[42:43]
	s_lshr_b64 s[14:15], s[14:15], 26
	s_add_nc_u64 s[4:5], s[4:5], s[30:31]
	s_lshl_b64 s[30:31], s[36:37], 10
	s_mul_u64 s[36:37], s[18:19], s[68:69]
	s_add_nc_u64 s[44:45], s[44:45], s[50:51]
	s_add_nc_u64 s[34:35], s[42:43], s[34:35]
	s_mul_u64 s[40:41], s[22:23], s[62:63]
	s_add_nc_u64 s[14:15], s[44:45], s[14:15]
	s_add_nc_u64 s[34:35], s[34:35], s[36:37]
	s_and_b32 s42, s14, 0x3ffffff
	s_mov_b32 s43, s19
	s_add_nc_u64 s[34:35], s[34:35], s[40:41]
	s_mul_u64 s[36:37], s[42:43], 0x3d10
	s_add_nc_u64 s[30:31], s[34:35], s[30:31]
	s_mul_u64 s[44:45], s[2:3], s[62:63]
	s_mul_u64 s[48:49], s[10:11], s[66:67]
	s_mul_u64 s[52:53], s[8:9], s[98:99]
	s_mul_u64 s[54:55], s[0:1], s[102:103]
	s_lshr_b64 s[34:35], s[4:5], 26
	s_add_nc_u64 s[30:31], s[30:31], s[36:37]
	s_mul_u64 s[50:51], s[16:17], s[70:71]
	s_mul_u64 s[56:57], s[12:13], s[72:73]
	s_add_nc_u64 s[52:53], s[54:55], s[52:53]
	s_add_nc_u64 s[44:45], s[48:49], s[44:45]
	s_lshr_b64 s[36:37], s[14:15], 26
	s_add_nc_u64 s[14:15], s[30:31], s[34:35]
	s_mul_u64 s[34:35], s[6:7], vcc
	s_mul_u64 s[54:55], s[24:25], s[100:101]
	s_add_nc_u64 s[52:53], s[52:53], s[56:57]
	s_add_nc_u64 s[44:45], s[44:45], s[50:51]
	s_mul_u64 s[40:41], s[18:19], s[64:65]
	s_add_nc_u64 s[48:49], s[52:53], s[54:55]
	s_add_nc_u64 s[34:35], s[44:45], s[34:35]
	s_lshl_b64 s[30:31], s[42:43], 10
	s_mul_u64 s[42:43], s[22:23], s[68:69]
	s_add_nc_u64 s[36:37], s[48:49], s[36:37]
	s_add_nc_u64 s[34:35], s[34:35], s[40:41]
	s_mul_u64 s[48:49], s[2:3], s[68:69]
	s_mul_u64 s[50:51], s[10:11], s[62:63]
	s_mul_u64 s[56:57], s[0:1], s[98:99]
	s_mul_u64 s[58:59], s[12:13], s[102:103]
	s_and_b32 s44, s36, 0x3ffffff
	s_mov_b32 s45, s19
	s_add_nc_u64 s[34:35], s[34:35], s[42:43]
	s_mul_u64 s[60:61], s[24:25], s[72:73]
	s_add_nc_u64 s[48:49], s[50:51], s[48:49]
	s_add_nc_u64 s[50:51], s[58:59], s[56:57]
	s_mul_u64 s[40:41], s[44:45], 0x3d10
	s_add_nc_u64 s[30:31], s[34:35], s[30:31]
	s_lshr_b64 s[36:37], s[36:37], 26
	s_mul_u64 s[52:53], s[16:17], s[66:67]
	s_add_nc_u64 s[50:51], s[50:51], s[60:61]
	s_lshr_b64 s[34:35], s[14:15], 26
	s_add_nc_u64 s[30:31], s[30:31], s[40:41]
	s_mul_u64 s[54:55], s[8:9], s[70:71]
	s_add_nc_u64 s[48:49], s[48:49], s[52:53]
	s_add_nc_u64 s[36:37], s[50:51], s[36:37]
	s_mul_u64 s[50:51], s[2:3], s[64:65]
	s_mul_u64 s[52:53], s[10:11], s[68:69]
	s_add_nc_u64 s[40:41], s[30:31], s[34:35]
	s_mul_u64 s[34:35], s[6:7], s[100:101]
	s_add_nc_u64 s[48:49], s[48:49], s[54:55]
	;; [unrolled: 2-line block ×3, first 2 shown]
	s_mul_u64 s[42:43], s[18:19], vcc
	s_add_nc_u64 s[34:35], s[48:49], s[34:35]
	s_add_nc_u64 s[50:51], s[50:51], s[54:55]
	s_mul_u64 s[54:55], s[24:25], s[102:103]
	v_writelane_b32 v18, s102, 24
	s_lshl_b64 s[30:31], s[44:45], 10
	s_mul_u64 s[44:45], s[22:23], s[64:65]
	s_add_nc_u64 s[34:35], s[34:35], s[42:43]
	s_and_b32 s48, s36, 0x3ffffff
	s_mov_b32 s49, s19
	s_add_nc_u64 s[34:35], s[34:35], s[44:45]
	v_writelane_b32 v18, s103, 25
	s_mul_u64 s[42:43], s[48:49], 0x3d10
	s_add_nc_u64 s[30:31], s[34:35], s[30:31]
	s_lshr_b64 s[34:35], s[40:41], 26
	s_add_nc_u64 s[30:31], s[30:31], s[42:43]
	s_lshr_b64 s[42:43], s[36:37], 26
	s_add_nc_u64 s[36:37], s[30:31], s[34:35]
	s_lshl_b64 s[30:31], s[48:49], 10
	s_mul_u64 s[48:49], s[22:23], vcc
	v_writelane_b32 v18, vcc_lo, 26
	s_mul_u64 s[56:57], s[8:9], s[66:67]
	s_mul_u64 s[58:59], s[0:1], s[70:71]
	s_add_nc_u64 s[50:51], s[50:51], s[56:57]
	s_mul_u64 s[2:3], s[2:3], vcc
	v_writelane_b32 v18, vcc_hi, 27
	s_mul_u64 s[10:11], s[10:11], s[64:65]
	s_mul_u64 s[34:35], s[6:7], s[72:73]
	;; [unrolled: 1-line block ×4, first 2 shown]
	s_add_nc_u64 s[50:51], s[50:51], s[58:59]
	s_mul_u64 s[16:17], s[16:17], s[68:69]
	s_add_nc_u64 s[2:3], s[10:11], s[2:3]
	v_writelane_b32 v18, s100, 28
	s_add_nc_u64 s[52:53], s[54:55], s[52:53]
	s_add_nc_u64 s[34:35], s[50:51], s[34:35]
	s_mul_u64 s[8:9], s[8:9], s[62:63]
	s_add_nc_u64 s[2:3], s[2:3], s[16:17]
	s_add_nc_u64 s[42:43], s[52:53], s[42:43]
	;; [unrolled: 1-line block ×3, first 2 shown]
	s_mul_u64 s[0:1], s[0:1], s[66:67]
	s_add_nc_u64 s[2:3], s[2:3], s[8:9]
	v_writelane_b32 v18, s101, 29
	s_and_b32 s50, s42, 0x3ffffff
	s_mov_b32 s51, s19
	s_add_nc_u64 s[34:35], s[34:35], s[48:49]
	s_mul_u64 s[8:9], s[12:13], s[70:71]
	s_add_nc_u64 s[0:1], s[2:3], s[0:1]
	s_mul_u64 s[44:45], s[50:51], 0x3d10
	;; [unrolled: 2-line block ×3, first 2 shown]
	s_add_nc_u64 s[0:1], s[0:1], s[8:9]
	s_add_nc_u64 s[30:31], s[30:31], s[44:45]
	s_lshr_b64 s[42:43], s[42:43], 26
	s_mul_u64 s[44:45], s[18:19], s[72:73]
	v_writelane_b32 v18, s98, 30
	s_mul_u64 s[8:9], s[24:25], s[98:99]
	s_add_nc_u64 s[0:1], s[0:1], s[6:7]
	s_lshr_b64 s[34:35], s[36:37], 26
	s_mul_u64 s[2:3], s[22:23], s[100:101]
	s_add_nc_u64 s[6:7], s[42:43], s[8:9]
	s_add_nc_u64 s[0:1], s[0:1], s[44:45]
	;; [unrolled: 1-line block ×3, first 2 shown]
	s_lshl_b64 s[30:31], s[50:51], 10
	s_and_b32 s18, s6, 0x3ffffff
	s_add_nc_u64 s[0:1], s[0:1], s[2:3]
	s_mul_u64 s[2:3], s[18:19], 0x3d10
	s_add_nc_u64 s[0:1], s[0:1], s[30:31]
	s_lshr_b64 s[8:9], s[34:35], 26
	s_add_nc_u64 s[0:1], s[0:1], s[2:3]
	s_lshr_b64 s[2:3], s[6:7], 26
	s_mov_b32 s27, s19
	s_add_nc_u64 s[30:31], s[0:1], s[8:9]
	s_mul_u64 s[0:1], s[2:3], 0x3d10
	s_lshl_b64 s[6:7], s[18:19], 10
	s_add_nc_u64 s[0:1], s[0:1], s[26:27]
	s_lshr_b64 s[8:9], s[30:31], 26
	s_add_nc_u64 s[0:1], s[0:1], s[6:7]
	s_lshl_b64 s[2:3], s[2:3], 14
	s_add_nc_u64 s[24:25], s[0:1], s[8:9]
	s_and_b32 s0, s28, 0x3ffffff
	s_lshr_b64 s[6:7], s[24:25], 22
	s_mov_b32 s1, s19
	s_add_nc_u64 s[2:3], s[6:7], s[2:3]
	s_and_b32 s6, s20, 0x3ffffff
	s_mul_u64 s[8:9], s[2:3], 0x3d1
	s_mov_b32 s7, s19
	s_add_nc_u64 s[8:9], s[8:9], s[0:1]
	s_lshl_b64 s[0:1], s[2:3], 6
	s_lshr_b64 s[2:3], s[8:9], 26
	s_add_nc_u64 s[0:1], s[0:1], s[6:7]
	s_and_b32 s6, s38, 0x3ffffff
	s_add_nc_u64 s[16:17], s[0:1], s[2:3]
	s_mov_b32 s33, -1
	s_lshr_b64 s[0:1], s[16:17], 26
	v_writelane_b32 v18, s99, 31
	s_add_nc_u64 s[22:23], s[0:1], s[6:7]
.LBB0_7:                                ; =>This Inner Loop Header: Depth=1
	s_lshl_b32 s12, s16, 1
	s_lshl_b32 s20, s4, 1
	;; [unrolled: 1-line block ×3, first 2 shown]
	s_and_b64 s[6:7], s[24:25], 0x3fffff
	s_lshl_b32 s10, s8, 1
	s_and_b32 s24, s30, 0x3ffffff
	s_mov_b32 s25, s19
	s_lshl_b32 s42, s22, 1
	s_mov_b32 s43, s19
	s_and_b32 s2, s34, 0x3ffffff
	s_mov_b32 s3, s19
	s_mov_b32 s13, s19
	s_and_b32 s0, s36, 0x3ffffff
	s_mov_b32 s1, s19
	;; [unrolled: 3-line block ×3, first 2 shown]
	s_and_b64 s[52:53], s[8:9], 0x3ffffff
	s_lshl_b32 s8, s40, 1
	s_and_b32 s54, s4, 0x3ffffff
	s_mov_b32 s55, s19
	s_and_b32 s50, s14, 0x3ffffff
	s_mov_b32 s51, s19
	s_and_b32 s4, s12, 0x7fffffe
	s_and_b32 s12, s20, 0x7fffffe
	s_and_b32 s14, s28, 0x7fffffe
	s_and_b32 s38, s16, 0x3ffffff
	s_mov_b32 s37, s19
	s_lshl_b32 s16, s36, 1
	s_mul_u64 s[72:73], s[2:3], s[42:43]
	s_mul_u64 s[64:65], s[24:25], s[42:43]
	;; [unrolled: 1-line block ×3, first 2 shown]
	s_and_b32 s36, s8, 0x7fffffe
	s_mul_u64 s[78:79], s[42:43], s[54:55]
	s_mul_u64 s[80:81], s[50:51], s[42:43]
	;; [unrolled: 1-line block ×7, first 2 shown]
	s_mov_b32 s39, s19
	s_and_b32 s18, s10, 0x7fffffe
	s_mul_u64 s[68:69], s[26:27], s[26:27]
	s_mul_u64 s[92:93], s[0:1], s[14:15]
	s_add_nc_u64 s[80:81], s[80:81], s[82:83]
	s_mul_u64 s[82:83], s[2:3], s[14:15]
	s_add_nc_u64 s[90:91], s[42:43], s[90:91]
	s_mul_u64 s[42:43], s[36:37], s[0:1]
	s_mov_b32 s57, s19
	s_mul_u64 s[70:71], s[38:39], s[38:39]
	s_mul_u64 s[74:75], s[0:1], s[0:1]
	s_and_b32 s56, s16, 0x7fffffe
	s_add_nc_u64 s[92:93], s[92:93], s[68:69]
	s_mul_u64 s[68:69], s[2:3], s[36:37]
	s_add_nc_u64 s[82:83], s[82:83], s[42:43]
	s_mul_u64 s[42:43], s[18:19], s[22:23]
	s_mov_b32 s5, s19
	s_add_nc_u64 s[74:75], s[68:69], s[74:75]
	s_mul_u64 s[68:69], s[24:25], s[36:37]
	s_add_nc_u64 s[70:71], s[42:43], s[70:71]
	s_mul_u64 s[42:43], s[56:57], s[2:3]
	s_mul_u64 s[58:59], s[22:23], s[22:23]
	s_add_nc_u64 s[94:95], s[68:69], s[42:43]
	s_mul_u64 s[42:43], s[54:55], s[18:19]
	s_mul_u64 s[22:23], s[4:5], s[22:23]
	s_lshl_b32 s34, s34, 1
	s_mul_u64 s[76:77], s[2:3], s[2:3]
	s_add_nc_u64 s[68:69], s[42:43], s[22:23]
	s_mul_u64 s[22:23], s[24:25], s[56:57]
	s_mov_b32 s61, s19
	s_and_b32 s60, s34, 0x7fffffe
	s_add_nc_u64 s[76:77], s[22:23], s[76:77]
	s_mul_u64 s[22:23], s[54:55], s[4:5]
	s_mul_u64 s[42:43], s[6:7], s[56:57]
	s_add_nc_u64 s[56:57], s[22:23], s[58:59]
	s_mul_u64 s[22:23], s[60:61], s[24:25]
	s_mul_u64 s[84:85], s[24:25], s[24:25]
	;; [unrolled: 3-line block ×3, first 2 shown]
	s_mul_u64 s[60:61], s[26:27], s[4:5]
	s_lshl_b32 s30, s30, 1
	s_mul_u64 s[96:97], s[50:51], s[50:51]
	s_add_nc_u64 s[58:59], s[22:23], s[78:79]
	s_add_nc_u64 s[42:43], s[42:43], s[84:85]
	;; [unrolled: 1-line block ×3, first 2 shown]
	s_mul_u64 s[78:79], s[12:13], s[50:51]
	s_mul_u64 s[80:81], s[26:27], s[12:13]
	;; [unrolled: 1-line block ×3, first 2 shown]
	s_add_nc_u64 s[72:73], s[90:91], s[72:73]
	s_mul_u64 s[90:91], s[24:25], s[14:15]
	s_mov_b32 s63, s19
	s_and_b32 s62, s30, 0x7fffffe
	s_add_nc_u64 s[78:79], s[86:87], s[78:79]
	s_add_nc_u64 s[80:81], s[80:81], s[96:97]
	s_mul_u64 s[86:87], s[24:25], s[12:13]
	s_add_nc_u64 s[84:85], s[92:93], s[84:85]
	s_add_nc_u64 s[74:75], s[74:75], s[90:91]
	s_mul_u64 s[90:91], s[24:25], s[4:5]
	s_mul_u64 s[50:51], s[50:51], s[18:19]
	;; [unrolled: 1-line block ×6, first 2 shown]
	s_add_nc_u64 s[82:83], s[82:83], s[86:87]
	s_mul_u64 s[86:87], s[6:7], s[18:19]
	s_mul_u64 s[12:13], s[6:7], s[12:13]
	;; [unrolled: 1-line block ×8, first 2 shown]
	s_add_nc_u64 s[50:51], s[56:57], s[50:51]
	s_add_nc_u64 s[26:27], s[58:59], s[26:27]
	;; [unrolled: 1-line block ×6, first 2 shown]
	s_mul_u64 s[24:25], s[24:25], s[18:19]
	s_add_nc_u64 s[64:65], s[84:85], s[64:65]
	s_add_nc_u64 s[0:1], s[0:1], s[2:3]
	;; [unrolled: 1-line block ×6, first 2 shown]
	s_lshr_b64 s[24:25], s[4:5], 26
	s_and_b64 s[58:59], s[4:5], 0x3fffffe
	s_add_nc_u64 s[4:5], s[6:7], s[24:25]
	s_mov_b32 s9, s19
	s_add_nc_u64 s[66:67], s[82:83], s[66:67]
	s_and_b32 s8, s4, 0x3ffffff
	s_lshr_b64 s[4:5], s[4:5], 26
	s_mul_u64 s[52:53], s[52:53], s[52:53]
	s_mul_u64 s[6:7], s[8:9], 0x3d10
	s_add_nc_u64 s[4:5], s[66:67], s[4:5]
	s_mul_u64 s[38:39], s[18:19], s[38:39]
	s_add_nc_u64 s[12:13], s[74:75], s[12:13]
	s_lshl_b64 s[8:9], s[8:9], 10
	s_add_nc_u64 s[6:7], s[6:7], s[52:53]
	s_and_b32 s28, s4, 0x3ffffff
	s_lshr_b64 s[4:5], s[4:5], 26
	s_mov_b32 s29, s19
	s_add_nc_u64 s[8:9], s[8:9], s[38:39]
	s_and_b64 s[38:39], s[6:7], 0x3fffffd
	s_lshr_b64 s[6:7], s[6:7], 26
	s_add_nc_u64 s[4:5], s[12:13], s[4:5]
	s_mov_b32 s31, s19
	s_add_nc_u64 s[14:15], s[94:95], s[14:15]
	s_mul_u64 s[24:25], s[28:29], 0x3d10
	s_lshl_b64 s[28:29], s[28:29], 10
	s_add_nc_u64 s[6:7], s[8:9], s[6:7]
	s_and_b32 s30, s4, 0x3ffffff
	s_lshr_b64 s[4:5], s[4:5], 26
	s_add_nc_u64 s[8:9], s[70:71], s[28:29]
	s_add_nc_u64 s[6:7], s[6:7], s[24:25]
	s_mul_u64 s[12:13], s[30:31], 0x3d10
	s_add_nc_u64 s[4:5], s[14:15], s[4:5]
	s_mov_b32 s35, s19
	s_add_nc_u64 s[36:37], s[76:77], s[36:37]
	s_lshl_b64 s[24:25], s[30:31], 10
	s_and_b32 s16, s6, 0x3ffffff
	s_lshr_b64 s[6:7], s[6:7], 26
	s_add_nc_u64 s[8:9], s[8:9], s[12:13]
	s_and_b32 s34, s4, 0x3ffffff
	s_lshr_b64 s[4:5], s[4:5], 26
	s_add_nc_u64 s[12:13], s[68:69], s[24:25]
	s_add_nc_u64 s[6:7], s[8:9], s[6:7]
	s_mul_u64 s[8:9], s[34:35], 0x3d10
	s_add_nc_u64 s[4:5], s[36:37], s[4:5]
	s_mov_b32 s21, s19
	s_lshl_b64 s[14:15], s[34:35], 10
	s_and_b32 s10, s6, 0x3ffffff
	s_lshr_b64 s[6:7], s[6:7], 26
	s_add_nc_u64 s[8:9], s[12:13], s[8:9]
	s_and_b32 s20, s4, 0x3ffffff
	s_lshr_b64 s[12:13], s[4:5], 26
	s_add_nc_u64 s[14:15], s[50:51], s[14:15]
	s_add_nc_u64 s[4:5], s[8:9], s[6:7]
	s_mul_u64 s[6:7], s[20:21], 0x3d10
	s_add_nc_u64 s[12:13], s[54:55], s[12:13]
	s_mov_b32 s41, s19
	s_lshl_b64 s[8:9], s[20:21], 10
	s_lshr_b64 s[20:21], s[4:5], 26
	s_add_nc_u64 s[6:7], s[14:15], s[6:7]
	s_and_b32 s40, s12, 0x3ffffff
	s_lshr_b64 s[12:13], s[12:13], 26
	s_add_nc_u64 s[8:9], s[26:27], s[8:9]
	s_add_nc_u64 s[14:15], s[6:7], s[20:21]
	s_mul_u64 s[6:7], s[40:41], 0x3d10
	s_add_nc_u64 s[12:13], s[42:43], s[12:13]
	s_mov_b32 s45, s19
	s_lshl_b64 s[20:21], s[40:41], 10
	;; [unrolled: 10-line block ×3, first 2 shown]
	s_lshr_b64 s[24:25], s[40:41], 26
	s_add_nc_u64 s[6:7], s[12:13], s[6:7]
	s_and_b32 s48, s8, 0x3ffffff
	s_lshr_b64 s[8:9], s[8:9], 26
	s_add_nc_u64 s[0:1], s[0:1], s[20:21]
	s_add_nc_u64 s[36:37], s[6:7], s[24:25]
	s_mul_u64 s[6:7], s[48:49], 0x3d10
	s_add_nc_u64 s[8:9], s[8:9], s[22:23]
	s_lshl_b64 s[12:13], s[48:49], 10
	s_lshr_b64 s[20:21], s[36:37], 26
	s_add_nc_u64 s[0:1], s[0:1], s[6:7]
	s_and_b32 s18, s8, 0x3ffffff
	s_lshr_b64 s[6:7], s[8:9], 26
	s_add_nc_u64 s[2:3], s[2:3], s[12:13]
	s_add_nc_u64 s[34:35], s[0:1], s[20:21]
	s_mul_u64 s[0:1], s[18:19], 0x3d10
	s_mul_u64 s[12:13], s[6:7], 0x3d10
	s_lshr_b64 s[20:21], s[34:35], 26
	s_add_nc_u64 s[0:1], s[2:3], s[0:1]
	s_lshl_b64 s[8:9], s[18:19], 10
	s_add_nc_u64 s[2:3], s[12:13], s[58:59]
	s_add_nc_u64 s[30:31], s[0:1], s[20:21]
	;; [unrolled: 1-line block ×3, first 2 shown]
	s_lshr_b64 s[2:3], s[30:31], 26
	s_lshl_b64 s[6:7], s[6:7], 14
	s_add_nc_u64 s[24:25], s[0:1], s[2:3]
	s_mov_b32 s17, s19
	s_lshr_b64 s[0:1], s[24:25], 22
	s_mov_b32 s11, s19
	s_add_nc_u64 s[0:1], s[0:1], s[6:7]
	s_and_b32 vcc_lo, exec_lo, s33
	s_mul_u64 s[2:3], s[0:1], 0x3d1
	s_lshl_b64 s[0:1], s[0:1], 6
	s_add_nc_u64 s[8:9], s[2:3], s[38:39]
	s_add_nc_u64 s[0:1], s[0:1], s[16:17]
	s_lshr_b64 s[2:3], s[8:9], 26
	s_mov_b32 s33, 0
	s_add_nc_u64 s[16:17], s[0:1], s[2:3]
	s_delay_alu instid0(SALU_CYCLE_1) | instskip(NEXT) | instid1(SALU_CYCLE_1)
	s_lshr_b64 s[0:1], s[16:17], 26
	s_add_nc_u64 s[22:23], s[0:1], s[10:11]
	s_cbranch_vccnz .LBB0_7
; %bb.8:
	v_readlane_b32 s66, v19, 20
	v_readlane_b32 s70, v19, 16
	;; [unrolled: 1-line block ×4, first 2 shown]
	s_mov_b32 s19, 0
	v_readlane_b32 s80, v19, 18
	v_readlane_b32 s81, v19, 19
	s_and_b64 s[6:7], s[8:9], 0x3ffffff
	s_and_b32 s2, s4, 0x3ffffff
	s_mov_b32 s3, s19
	s_and_b32 s8, s14, 0x3ffffff
	s_mov_b32 s9, s19
	v_readlane_b32 s78, v19, 10
	v_readlane_b32 s79, v19, 11
	s_mul_u64 s[26:27], s[2:3], s[66:67]
	s_and_b32 s12, s40, 0x3ffffff
	s_mov_b32 s13, s19
	s_mul_u64 s[14:15], s[8:9], s[70:71]
	v_readlane_b32 s64, v19, 8
	v_readlane_b32 s65, v19, 9
	s_mul_u64 s[28:29], s[12:13], s[80:81]
	s_and_b32 s4, s36, 0x3ffffff
	s_mov_b32 s5, s19
	s_add_nc_u64 s[14:15], s[14:15], s[26:27]
	v_readlane_b32 s76, v19, 6
	v_readlane_b32 s77, v19, 7
	s_and_b32 s0, s34, 0x3ffffff
	s_mov_b32 s1, s19
	s_mul_u64 s[34:35], s[4:5], s[78:79]
	s_add_nc_u64 s[14:15], s[14:15], s[28:29]
	v_readlane_b32 s74, v19, 4
	v_readlane_b32 s75, v19, 5
	v_readlane_b32 s62, v19, 22
	s_mul_u64 s[36:37], s[0:1], s[64:65]
	s_and_b32 s10, s30, 0x3ffffff
	s_mov_b32 s11, s19
	s_add_nc_u64 s[28:29], s[14:15], s[34:35]
	v_readlane_b32 s63, v19, 23
	s_mul_u64 s[26:27], s[10:11], s[76:77]
	s_and_b64 s[14:15], s[24:25], 0x3fffff
	s_add_nc_u64 s[24:25], s[28:29], s[36:37]
	v_readlane_b32 s68, v19, 12
	v_readlane_b32 s69, v19, 13
	s_mul_u64 s[28:29], s[14:15], s[74:75]
	s_add_nc_u64 s[24:25], s[24:25], s[26:27]
	v_readlane_b32 s72, v19, 14
	v_readlane_b32 s73, v19, 15
	s_mul_u64 s[20:21], s[6:7], s[62:63]
	s_and_b32 s18, s16, 0x3ffffff
	s_add_nc_u64 s[16:17], s[24:25], s[28:29]
	s_mul_u64 s[24:25], s[18:19], s[68:69]
	s_add_nc_u64 s[16:17], s[16:17], s[20:21]
	s_mul_u64 s[20:21], s[22:23], s[72:73]
	;; [unrolled: 2-line block ×4, first 2 shown]
	s_mul_u64 s[26:27], s[12:13], s[70:71]
	s_add_nc_u64 s[20:21], s[24:25], s[20:21]
	s_mul_u64 s[24:25], s[4:5], s[80:81]
	s_add_nc_u64 s[20:21], s[20:21], s[26:27]
	;; [unrolled: 2-line block ×3, first 2 shown]
	s_mul_u64 s[30:31], s[2:3], s[68:69]
	s_mul_u64 s[34:35], s[8:9], s[72:73]
	;; [unrolled: 1-line block ×3, first 2 shown]
	s_add_nc_u64 s[20:21], s[20:21], s[26:27]
	s_mul_u64 s[36:37], s[12:13], s[66:67]
	s_add_nc_u64 s[30:31], s[34:35], s[30:31]
	s_mul_u64 s[26:27], s[14:15], s[76:77]
	;; [unrolled: 2-line block ×7, first 2 shown]
	s_add_nc_u64 s[30:31], s[30:31], s[36:37]
	s_lshr_b64 s[24:25], s[16:17], 26
	s_add_nc_u64 s[20:21], s[20:21], s[26:27]
	s_mul_u64 s[36:37], s[14:15], s[64:65]
	s_add_nc_u64 s[30:31], s[30:31], s[34:35]
	s_add_nc_u64 s[20:21], s[20:21], s[24:25]
	s_mul_u64 s[34:35], s[22:23], s[62:63]
	s_add_nc_u64 s[30:31], s[30:31], s[36:37]
	s_and_b32 s24, s20, 0x3ffffff
	s_mov_b32 s25, s19
	s_lshr_b64 s[20:21], s[20:21], 26
	s_add_nc_u64 s[30:31], s[30:31], s[34:35]
	s_mul_u64 s[26:27], s[6:7], s[74:75]
	s_mul_u64 s[28:29], s[24:25], 0x3d10
	;; [unrolled: 1-line block ×3, first 2 shown]
	s_add_nc_u64 s[20:21], s[30:31], s[20:21]
	s_mul_u64 s[30:31], s[18:19], s[74:75]
	s_add_nc_u64 s[26:27], s[28:29], s[26:27]
	s_lshl_b64 s[24:25], s[24:25], 10
	s_add_nc_u64 s[30:31], s[30:31], s[34:35]
	s_lshr_b64 s[28:29], s[26:27], 26
	s_and_b32 s36, s20, 0x3ffffff
	s_mov_b32 s37, s19
	s_add_nc_u64 s[24:25], s[30:31], s[24:25]
	s_mul_u64 s[30:31], s[36:37], 0x3d10
	s_add_nc_u64 s[24:25], s[24:25], s[28:29]
	s_lshr_b64 s[28:29], s[20:21], 26
	s_add_nc_u64 s[20:21], s[24:25], s[30:31]
	s_mul_u64 s[30:31], s[2:3], s[62:63]
	s_mul_u64 s[34:35], s[8:9], s[68:69]
	s_lshl_b64 s[24:25], s[36:37], 10
	s_mul_u64 s[36:37], s[12:13], s[72:73]
	s_add_nc_u64 s[30:31], s[34:35], s[30:31]
	s_mul_u64 s[34:35], s[4:5], s[66:67]
	s_add_nc_u64 s[30:31], s[30:31], s[36:37]
	;; [unrolled: 2-line block ×8, first 2 shown]
	s_and_b32 s38, s28, 0x3ffffff
	s_mov_b32 s39, s19
	s_add_nc_u64 s[30:31], s[34:35], s[30:31]
	s_mul_u64 s[34:35], s[38:39], 0x3d10
	s_add_nc_u64 s[24:25], s[30:31], s[24:25]
	s_lshr_b64 s[30:31], s[20:21], 26
	s_add_nc_u64 s[24:25], s[24:25], s[34:35]
	s_mul_u64 s[36:37], s[8:9], s[62:63]
	s_add_nc_u64 s[40:41], s[24:25], s[30:31]
	s_lshl_b64 s[24:25], s[38:39], 10
	s_mul_u64 s[38:39], s[12:13], s[68:69]
	s_mul_u64 s[42:43], s[4:5], s[72:73]
	s_add_nc_u64 s[36:37], s[38:39], s[36:37]
	s_mul_u64 s[38:39], s[0:1], s[66:67]
	s_add_nc_u64 s[36:37], s[36:37], s[42:43]
	;; [unrolled: 2-line block ×5, first 2 shown]
	s_mul_u64 s[38:39], s[2:3], s[74:75]
	s_lshr_b64 s[28:29], s[28:29], 26
	s_mul_u64 s[34:35], s[18:19], s[64:65]
	s_add_nc_u64 s[30:31], s[30:31], s[38:39]
	s_mul_u64 s[44:45], s[12:13], s[62:63]
	s_mul_u64 s[48:49], s[4:5], s[68:69]
	;; [unrolled: 1-line block ×3, first 2 shown]
	s_add_nc_u64 s[28:29], s[36:37], s[28:29]
	s_add_nc_u64 s[30:31], s[30:31], s[34:35]
	s_mul_u64 s[50:51], s[0:1], s[72:73]
	s_add_nc_u64 s[44:45], s[48:49], s[44:45]
	s_and_b32 s36, s28, 0x3ffffff
	s_mov_b32 s37, s19
	s_add_nc_u64 s[30:31], s[30:31], s[42:43]
	s_mul_u64 s[48:49], s[10:11], s[66:67]
	s_add_nc_u64 s[44:45], s[44:45], s[50:51]
	s_mul_u64 s[34:35], s[36:37], 0x3d10
	;; [unrolled: 2-line block ×4, first 2 shown]
	s_lshr_b64 s[30:31], s[40:41], 26
	s_add_nc_u64 s[24:25], s[24:25], s[34:35]
	s_mul_u64 s[34:35], s[6:7], s[80:81]
	s_mul_u64 s[50:51], s[14:15], s[70:71]
	s_add_nc_u64 s[42:43], s[48:49], s[42:43]
	s_lshr_b64 s[28:29], s[28:29], 26
	s_add_nc_u64 s[46:47], s[24:25], s[30:31]
	s_lshl_b64 s[30:31], s[36:37], 10
	s_mul_u64 s[36:37], s[18:19], s[78:79]
	s_add_nc_u64 s[44:45], s[44:45], s[50:51]
	s_add_nc_u64 s[34:35], s[42:43], s[34:35]
	s_mul_u64 s[38:39], s[22:23], s[64:65]
	s_add_nc_u64 s[28:29], s[44:45], s[28:29]
	s_add_nc_u64 s[34:35], s[34:35], s[36:37]
	s_and_b32 s42, s28, 0x3ffffff
	s_mov_b32 s43, s19
	s_add_nc_u64 s[34:35], s[34:35], s[38:39]
	s_mul_u64 s[36:37], s[42:43], 0x3d10
	s_add_nc_u64 s[30:31], s[34:35], s[30:31]
	s_mul_u64 s[44:45], s[2:3], s[64:65]
	s_mul_u64 s[48:49], s[8:9], s[76:77]
	;; [unrolled: 1-line block ×4, first 2 shown]
	s_lshr_b64 s[34:35], s[46:47], 26
	s_add_nc_u64 s[30:31], s[30:31], s[36:37]
	s_mul_u64 s[50:51], s[12:13], s[74:75]
	s_mul_u64 s[56:57], s[10:11], s[72:73]
	s_add_nc_u64 s[52:53], s[54:55], s[52:53]
	s_add_nc_u64 s[44:45], s[48:49], s[44:45]
	;; [unrolled: 1-line block ×3, first 2 shown]
	s_mul_u64 s[34:35], s[6:7], s[70:71]
	s_mul_u64 s[54:55], s[14:15], s[66:67]
	s_add_nc_u64 s[52:53], s[52:53], s[56:57]
	s_add_nc_u64 s[44:45], s[44:45], s[50:51]
	s_lshr_b64 s[36:37], s[28:29], 26
	s_mul_u64 s[38:39], s[18:19], s[80:81]
	s_add_nc_u64 s[48:49], s[52:53], s[54:55]
	s_add_nc_u64 s[34:35], s[44:45], s[34:35]
	s_lshl_b64 s[30:31], s[42:43], 10
	s_mul_u64 s[42:43], s[22:23], s[78:79]
	s_add_nc_u64 s[36:37], s[48:49], s[36:37]
	s_add_nc_u64 s[34:35], s[34:35], s[38:39]
	s_mul_u64 s[48:49], s[2:3], s[78:79]
	s_mul_u64 s[50:51], s[8:9], s[64:65]
	s_and_b32 s44, s36, 0x3ffffff
	s_mov_b32 s45, s19
	s_add_nc_u64 s[34:35], s[34:35], s[42:43]
	s_mul_u64 s[52:53], s[12:13], s[76:77]
	s_add_nc_u64 s[48:49], s[50:51], s[48:49]
	s_mul_u64 s[38:39], s[44:45], 0x3d10
	;; [unrolled: 2-line block ×3, first 2 shown]
	s_mul_u64 s[56:57], s[0:1], s[62:63]
	s_mul_u64 s[58:59], s[10:11], s[68:69]
	s_add_nc_u64 s[48:49], s[48:49], s[52:53]
	s_add_nc_u64 s[30:31], s[30:31], s[38:39]
	s_mul_u64 s[38:39], s[6:7], s[66:67]
	s_mul_u64 s[60:61], s[14:15], s[72:73]
	s_add_nc_u64 s[50:51], s[58:59], s[56:57]
	s_add_nc_u64 s[48:49], s[48:49], s[54:55]
	s_lshr_b64 s[34:35], s[24:25], 26
	s_lshr_b64 s[36:37], s[36:37], 26
	s_mul_u64 s[42:43], s[18:19], s[70:71]
	s_add_nc_u64 s[50:51], s[50:51], s[60:61]
	s_add_nc_u64 s[38:39], s[48:49], s[38:39]
	;; [unrolled: 1-line block ×3, first 2 shown]
	s_lshl_b64 s[34:35], s[44:45], 10
	s_mul_u64 s[44:45], s[22:23], s[80:81]
	s_add_nc_u64 s[36:37], s[50:51], s[36:37]
	s_add_nc_u64 s[38:39], s[38:39], s[42:43]
	s_mul_u64 s[50:51], s[2:3], s[80:81]
	s_mul_u64 s[52:53], s[8:9], s[78:79]
	s_and_b32 s48, s36, 0x3ffffff
	s_mov_b32 s49, s19
	s_add_nc_u64 s[38:39], s[38:39], s[44:45]
	s_mul_u64 s[54:55], s[12:13], s[64:65]
	s_add_nc_u64 s[50:51], s[52:53], s[50:51]
	s_mul_u64 s[42:43], s[48:49], 0x3d10
	;; [unrolled: 2-line block ×3, first 2 shown]
	s_add_nc_u64 s[50:51], s[50:51], s[54:55]
	s_lshr_b64 s[38:39], s[28:29], 26
	s_add_nc_u64 s[34:35], s[34:35], s[42:43]
	s_mul_u64 s[58:59], s[0:1], s[74:75]
	s_add_nc_u64 s[50:51], s[50:51], s[56:57]
	s_mul_u64 s[2:3], s[2:3], s[70:71]
	s_mul_u64 s[8:9], s[8:9], s[80:81]
	s_lshr_b64 s[42:43], s[36:37], 26
	s_add_nc_u64 s[36:37], s[34:35], s[38:39]
	s_mul_u64 s[38:39], s[6:7], s[72:73]
	s_mul_u64 s[52:53], s[10:11], s[62:63]
	;; [unrolled: 1-line block ×3, first 2 shown]
	s_add_nc_u64 s[50:51], s[50:51], s[58:59]
	s_mul_u64 s[12:13], s[12:13], s[78:79]
	s_add_nc_u64 s[2:3], s[8:9], s[2:3]
	s_mul_u64 s[44:45], s[18:19], s[66:67]
	s_add_nc_u64 s[52:53], s[54:55], s[52:53]
	s_add_nc_u64 s[38:39], s[50:51], s[38:39]
	s_mul_u64 s[4:5], s[4:5], s[64:65]
	s_add_nc_u64 s[2:3], s[2:3], s[12:13]
	s_lshl_b64 s[34:35], s[48:49], 10
	s_mul_u64 s[48:49], s[22:23], s[70:71]
	s_add_nc_u64 s[42:43], s[52:53], s[42:43]
	s_add_nc_u64 s[38:39], s[38:39], s[44:45]
	s_mul_u64 s[0:1], s[0:1], s[76:77]
	s_add_nc_u64 s[2:3], s[2:3], s[4:5]
	s_and_b32 s50, s42, 0x3ffffff
	s_mov_b32 s51, s19
	s_add_nc_u64 s[38:39], s[38:39], s[48:49]
	s_mul_u64 s[4:5], s[10:11], s[74:75]
	s_add_nc_u64 s[0:1], s[2:3], s[0:1]
	s_mul_u64 s[44:45], s[50:51], 0x3d10
	;; [unrolled: 2-line block ×3, first 2 shown]
	s_add_nc_u64 s[0:1], s[0:1], s[4:5]
	s_add_nc_u64 s[34:35], s[34:35], s[44:45]
	s_lshr_b64 s[42:43], s[42:43], 26
	s_mul_u64 s[44:45], s[18:19], s[72:73]
	s_mul_u64 s[4:5], s[14:15], s[62:63]
	s_add_nc_u64 s[0:1], s[0:1], s[6:7]
	s_lshr_b64 s[38:39], s[36:37], 26
	s_mul_u64 s[2:3], s[22:23], s[66:67]
	s_add_nc_u64 s[4:5], s[42:43], s[4:5]
	s_add_nc_u64 s[0:1], s[0:1], s[44:45]
	;; [unrolled: 1-line block ×3, first 2 shown]
	s_lshl_b64 s[38:39], s[50:51], 10
	s_and_b32 s18, s4, 0x3ffffff
	s_add_nc_u64 s[0:1], s[0:1], s[2:3]
	s_mul_u64 s[2:3], s[18:19], 0x3d10
	s_add_nc_u64 s[0:1], s[0:1], s[38:39]
	s_lshr_b64 s[6:7], s[30:31], 26
	s_add_nc_u64 s[0:1], s[0:1], s[2:3]
	s_lshr_b64 s[2:3], s[4:5], 26
	s_and_b32 s16, s16, 0x3ffffff
	s_mov_b32 s17, s19
	s_add_nc_u64 s[66:67], s[0:1], s[6:7]
	s_mul_u64 s[0:1], s[2:3], 0x3d10
	s_lshl_b64 s[4:5], s[18:19], 10
	s_add_nc_u64 s[0:1], s[0:1], s[16:17]
	s_lshr_b64 s[6:7], s[66:67], 26
	s_add_nc_u64 s[0:1], s[0:1], s[4:5]
	s_lshl_b64 s[2:3], s[2:3], 14
	s_add_nc_u64 s[14:15], s[0:1], s[6:7]
	s_and_b32 s0, s26, 0x3ffffff
	s_lshr_b64 s[4:5], s[14:15], 22
	s_mov_b32 s1, s19
	s_add_nc_u64 s[2:3], s[4:5], s[2:3]
	s_and_b32 s4, s20, 0x3ffffff
	s_mul_u64 s[6:7], s[2:3], 0x3d1
	s_mov_b32 s5, s19
	s_add_nc_u64 s[48:49], s[6:7], s[0:1]
	s_lshl_b64 s[0:1], s[2:3], 6
	s_lshr_b64 s[2:3], s[48:49], 26
	s_add_nc_u64 s[0:1], s[0:1], s[4:5]
	s_and_b32 s4, s40, 0x3ffffff
	s_add_nc_u64 s[64:65], s[0:1], s[2:3]
	s_mov_b32 s33, 11
	s_lshr_b64 s[0:1], s[64:65], 26
	s_mov_b64 s[42:43], s[64:65]
	s_add_nc_u64 s[22:23], s[0:1], s[4:5]
	s_mov_b32 s0, s48
	s_mov_b64 s[26:27], s[22:23]
	v_writelane_b32 v17, s0, 0
	s_mov_b64 s[20:21], s[46:47]
	s_mov_b64 s[6:7], s[24:25]
	;; [unrolled: 1-line block ×4, first 2 shown]
	v_writelane_b32 v17, s1, 1
	s_mov_b32 s0, s24
	s_mov_b64 s[12:13], s[30:31]
	s_mov_b64 s[44:45], s[66:67]
	;; [unrolled: 1-line block ×3, first 2 shown]
	v_writelane_b32 v17, s0, 2
	v_writelane_b32 v17, s1, 3
	s_mov_b32 s0, s28
	s_delay_alu instid0(SALU_CYCLE_1) | instskip(SKIP_2) | instid1(SALU_CYCLE_1)
	v_writelane_b32 v17, s0, 4
	v_writelane_b32 v17, s1, 5
	s_mov_b32 s0, s36
	v_writelane_b32 v17, s0, 6
	v_writelane_b32 v17, s1, 7
	s_mov_b32 s0, s30
	s_delay_alu instid0(SALU_CYCLE_1)
	v_writelane_b32 v17, s0, 8
	v_writelane_b32 v17, s1, 9
.LBB0_9:                                ; =>This Inner Loop Header: Depth=1
	s_lshl_b32 s16, s42, 1
	s_lshl_b32 s24, s20, 1
	;; [unrolled: 1-line block ×3, first 2 shown]
	s_and_b64 s[0:1], s[2:3], 0x3fffff
	s_lshl_b32 s4, s48, 1
	s_and_b32 s2, s44, 0x3ffffff
	s_mov_b32 s3, s19
	s_lshl_b32 s68, s26, 1
	s_mov_b32 s69, s19
	s_and_b32 s8, s12, 0x3ffffff
	s_mov_b32 s9, s19
	s_mov_b32 s17, s19
	s_and_b32 s10, s50, 0x3ffffff
	s_mov_b32 s11, s19
	;; [unrolled: 3-line block ×3, first 2 shown]
	s_and_b64 s[62:63], s[48:49], 0x3ffffff
	s_and_b32 s48, s42, 0x3ffffff
	s_lshl_b32 s28, s52, 1
	s_and_b32 s72, s20, 0x3ffffff
	s_mov_b32 s73, s19
	s_and_b32 s60, s6, 0x3ffffff
	s_mov_b32 s61, s19
	s_lshl_b32 s29, s44, 1
	s_and_b32 s6, s16, 0x7fffffe
	s_and_b32 s16, s24, 0x7fffffe
	;; [unrolled: 1-line block ×3, first 2 shown]
	s_mov_b32 s51, s19
	s_lshl_b32 s20, s50, 1
	s_mul_u64 s[88:89], s[8:9], s[68:69]
	s_mul_u64 s[80:81], s[2:3], s[68:69]
	s_mul_u64 s[82:83], s[0:1], s[68:69]
	s_and_b32 s50, s28, 0x7fffffe
	s_mul_u64 s[98:99], s[68:69], s[72:73]
	s_mul_u64 s[100:101], s[60:61], s[68:69]
	;; [unrolled: 1-line block ×4, first 2 shown]
	s_and_b32 s86, s29, 0x7fffffe
	s_mul_u64 s[28:29], s[10:11], s[68:69]
	s_mul_u64 s[68:69], s[10:11], s[16:17]
	;; [unrolled: 1-line block ×3, first 2 shown]
	s_mov_b32 s49, s19
	s_and_b32 s18, s4, 0x7fffffe
	s_mul_u64 s[90:91], s[40:41], s[40:41]
	s_mul_u64 s[36:37], s[10:11], s[42:43]
	s_add_nc_u64 s[100:101], s[100:101], s[102:103]
	s_mul_u64 s[102:103], s[8:9], s[42:43]
	s_add_nc_u64 s[34:35], s[68:69], s[34:35]
	s_mul_u64 s[68:69], s[50:51], s[10:11]
	s_mov_b32 s75, s19
	s_mul_u64 s[92:93], s[48:49], s[48:49]
	s_mul_u64 s[94:95], s[10:11], s[10:11]
	s_and_b32 s74, s20, 0x7fffffe
	s_add_nc_u64 s[36:37], s[36:37], s[90:91]
	s_mul_u64 s[90:91], s[8:9], s[50:51]
	s_add_nc_u64 s[102:103], s[102:103], s[68:69]
	s_mul_u64 s[68:69], s[18:19], s[26:27]
	s_mov_b32 s7, s19
	s_add_nc_u64 s[94:95], s[90:91], s[94:95]
	s_mul_u64 s[38:39], s[2:3], s[50:51]
	s_add_nc_u64 s[90:91], s[68:69], s[92:93]
	s_mul_u64 s[68:69], s[74:75], s[8:9]
	s_mul_u64 s[76:77], s[26:27], s[26:27]
	s_lshl_b32 s12, s12, 1
	s_add_nc_u64 s[38:39], s[38:39], s[68:69]
	s_mul_u64 s[68:69], s[72:73], s[18:19]
	s_mul_u64 s[26:27], s[6:7], s[26:27]
	s_mov_b32 s85, s19
	s_mul_u64 s[96:97], s[8:9], s[8:9]
	s_and_b32 s84, s12, 0x7fffffe
	s_add_nc_u64 s[68:69], s[68:69], s[26:27]
	s_mul_u64 s[26:27], s[2:3], s[74:75]
	s_mul_u64 s[72:73], s[72:73], s[6:7]
	;; [unrolled: 1-line block ×3, first 2 shown]
	s_add_nc_u64 s[92:93], s[26:27], s[96:97]
	s_mul_u64 s[26:27], s[84:85], s[2:3]
	s_add_nc_u64 s[76:77], s[72:73], s[76:77]
	s_add_nc_u64 s[72:73], s[74:75], s[26:27]
	s_mul_u64 s[26:27], s[60:61], s[6:7]
	s_mul_u64 vcc, s[2:3], s[2:3]
	s_mul_u64 s[74:75], s[0:1], s[84:85]
	s_add_nc_u64 s[84:85], s[26:27], s[98:99]
	s_mul_u64 s[98:99], s[40:41], s[6:7]
	s_add_nc_u64 s[34:35], s[34:35], s[88:89]
	s_mul_u64 s[88:89], s[8:9], s[16:17]
	s_mul_u64 s[30:31], s[60:61], s[60:61]
	s_add_nc_u64 s[26:27], s[74:75], vcc
	s_mul_u64 s[74:75], s[16:17], s[60:61]
	s_add_nc_u64 s[98:99], s[100:101], s[98:99]
	s_mul_u64 s[100:101], s[40:41], s[16:17]
	s_add_nc_u64 s[36:37], s[36:37], s[88:89]
	s_mul_u64 s[88:89], s[2:3], s[16:17]
	s_add_nc_u64 s[24:25], s[24:25], s[74:75]
	s_mul_u64 s[74:75], s[2:3], s[6:7]
	s_add_nc_u64 s[30:31], s[100:101], s[30:31]
	s_add_nc_u64 s[88:89], s[102:103], s[88:89]
	s_mul_u64 s[102:103], s[10:11], s[18:19]
	s_mul_u64 s[10:11], s[10:11], s[6:7]
	s_mov_b32 s87, s19
	s_mul_u64 s[96:97], s[0:1], s[18:19]
	s_mul_u64 s[100:101], s[0:1], s[6:7]
	;; [unrolled: 1-line block ×4, first 2 shown]
	s_add_nc_u64 s[10:11], s[24:25], s[10:11]
	s_add_nc_u64 s[24:25], s[30:31], s[28:29]
	;; [unrolled: 1-line block ×3, first 2 shown]
	s_mul_u64 s[78:79], s[62:63], s[62:63]
	s_mul_u64 s[62:63], s[0:1], s[0:1]
	;; [unrolled: 1-line block ×8, first 2 shown]
	s_add_nc_u64 s[30:31], s[36:37], s[80:81]
	s_add_nc_u64 s[8:9], s[10:11], s[8:9]
	;; [unrolled: 1-line block ×6, first 2 shown]
	s_lshr_b64 s[6:7], s[10:11], 26
	s_mov_b32 s13, s19
	s_add_nc_u64 s[6:7], s[24:25], s[6:7]
	s_add_nc_u64 s[34:35], s[88:89], s[82:83]
	s_and_b32 s12, s6, 0x3ffffff
	s_lshr_b64 s[6:7], s[6:7], 26
	s_add_nc_u64 s[42:43], s[94:95], s[42:43]
	s_mul_u64 s[24:25], s[12:13], 0x3d10
	s_add_nc_u64 s[6:7], s[34:35], s[6:7]
	s_mul_u64 s[48:49], s[18:19], s[48:49]
	s_add_nc_u64 s[16:17], s[42:43], s[16:17]
	s_lshl_b64 s[12:13], s[12:13], 10
	s_add_nc_u64 s[24:25], s[24:25], s[78:79]
	s_and_b32 s44, s6, 0x3ffffff
	s_lshr_b64 s[6:7], s[6:7], 26
	s_mov_b32 s45, s19
	s_add_nc_u64 s[12:13], s[12:13], s[48:49]
	s_lshr_b64 s[28:29], s[24:25], 26
	s_add_nc_u64 s[6:7], s[16:17], s[6:7]
	s_mov_b32 s21, s19
	s_add_nc_u64 s[0:1], s[38:39], s[0:1]
	s_mul_u64 s[30:31], s[44:45], 0x3d10
	s_lshl_b64 s[34:35], s[44:45], 10
	s_add_nc_u64 s[12:13], s[12:13], s[28:29]
	s_and_b32 s20, s6, 0x3ffffff
	s_lshr_b64 s[6:7], s[6:7], 26
	s_add_nc_u64 s[16:17], s[90:91], s[34:35]
	s_add_nc_u64 s[28:29], s[12:13], s[30:31]
	s_mul_u64 s[12:13], s[20:21], 0x3d10
	s_add_nc_u64 s[0:1], s[0:1], s[6:7]
	s_mov_b32 s53, s19
	s_add_nc_u64 s[38:39], s[92:93], s[50:51]
	s_lshl_b64 s[20:21], s[20:21], 10
	s_lshr_b64 s[6:7], s[28:29], 26
	s_add_nc_u64 s[12:13], s[16:17], s[12:13]
	s_and_b32 s52, s0, 0x3ffffff
	s_lshr_b64 s[0:1], s[0:1], 26
	s_mul_u64 s[60:61], s[60:61], s[18:19]
	s_add_nc_u64 s[16:17], s[68:69], s[20:21]
	s_add_nc_u64 s[30:31], s[12:13], s[6:7]
	s_mul_u64 s[6:7], s[52:53], 0x3d10
	s_add_nc_u64 s[0:1], s[38:39], s[0:1]
	s_mov_b32 s55, s19
	s_add_nc_u64 s[50:51], s[76:77], s[60:61]
	s_lshl_b64 s[12:13], s[52:53], 10
	s_lshr_b64 s[20:21], s[30:31], 26
	s_add_nc_u64 s[6:7], s[16:17], s[6:7]
	s_and_b32 s54, s0, 0x3ffffff
	s_lshr_b64 s[0:1], s[0:1], 26
	s_mul_u64 s[40:41], s[40:41], s[18:19]
	s_add_nc_u64 s[12:13], s[50:51], s[12:13]
	s_add_nc_u64 s[20:21], s[6:7], s[20:21]
	s_mul_u64 s[6:7], s[54:55], 0x3d10
	s_add_nc_u64 s[0:1], s[72:73], s[0:1]
	s_mov_b32 s71, s19
	s_add_nc_u64 s[40:41], s[84:85], s[40:41]
	s_lshl_b64 s[16:17], s[54:55], 10
	s_lshr_b64 s[34:35], s[20:21], 26
	s_add_nc_u64 s[6:7], s[12:13], s[6:7]
	s_and_b32 s70, s0, 0x3ffffff
	s_lshr_b64 s[0:1], s[0:1], 26
	s_add_nc_u64 s[12:13], s[40:41], s[16:17]
	s_add_nc_u64 s[6:7], s[6:7], s[34:35]
	s_mul_u64 s[16:17], s[70:71], 0x3d10
	s_add_nc_u64 s[0:1], s[26:27], s[0:1]
	s_mov_b32 s57, s19
	s_add_nc_u64 s[60:61], s[98:99], s[102:103]
	s_lshl_b64 s[34:35], s[70:71], 10
	s_lshr_b64 s[26:27], s[6:7], 26
	s_add_nc_u64 s[12:13], s[12:13], s[16:17]
	s_and_b32 s56, s0, 0x3ffffff
	s_lshr_b64 s[0:1], s[0:1], 26
	s_add_nc_u64 s[16:17], s[60:61], s[34:35]
	s_add_nc_u64 s[52:53], s[12:13], s[26:27]
	s_mul_u64 s[12:13], s[56:57], 0x3d10
	s_add_nc_u64 s[0:1], s[0:1], s[86:87]
	s_mov_b32 s59, s19
	s_lshl_b64 s[26:27], s[56:57], 10
	s_lshr_b64 s[34:35], s[52:53], 26
	s_add_nc_u64 s[12:13], s[16:17], s[12:13]
	s_and_b32 s58, s0, 0x3ffffff
	s_lshr_b64 s[0:1], s[0:1], 26
	s_add_nc_u64 s[8:9], s[8:9], s[26:27]
	s_add_nc_u64 s[50:51], s[12:13], s[34:35]
	s_mul_u64 s[12:13], s[58:59], 0x3d10
	s_add_nc_u64 s[0:1], s[0:1], s[62:63]
	s_lshl_b64 s[16:17], s[58:59], 10
	s_lshr_b64 s[26:27], s[50:51], 26
	s_add_nc_u64 s[8:9], s[8:9], s[12:13]
	s_and_b32 s18, s0, 0x3ffffff
	s_lshr_b64 s[0:1], s[0:1], 26
	s_add_nc_u64 s[2:3], s[2:3], s[16:17]
	s_add_nc_u64 s[12:13], s[8:9], s[26:27]
	s_mul_u64 s[8:9], s[18:19], 0x3d10
	s_and_b64 s[10:11], s[10:11], 0x3fffffe
	s_mul_u64 s[26:27], s[0:1], 0x3d10
	s_lshr_b64 s[34:35], s[12:13], 26
	s_add_nc_u64 s[2:3], s[2:3], s[8:9]
	s_lshl_b64 s[16:17], s[18:19], 10
	s_add_nc_u64 s[8:9], s[26:27], s[10:11]
	s_add_nc_u64 s[44:45], s[2:3], s[34:35]
	;; [unrolled: 1-line block ×3, first 2 shown]
	s_lshr_b64 s[8:9], s[44:45], 26
	s_lshl_b64 s[0:1], s[0:1], 14
	s_add_nc_u64 s[2:3], s[2:3], s[8:9]
	s_and_b64 s[16:17], s[24:25], 0x3fffffd
	s_lshr_b64 s[8:9], s[2:3], 22
	s_mov_b32 s5, s19
	s_add_nc_u64 s[0:1], s[8:9], s[0:1]
	s_and_b32 s4, s28, 0x3ffffff
	s_mul_u64 s[8:9], s[0:1], 0x3d1
	s_lshl_b64 s[0:1], s[0:1], 6
	s_add_nc_u64 s[48:49], s[8:9], s[16:17]
	s_add_nc_u64 s[0:1], s[0:1], s[4:5]
	s_lshr_b64 s[4:5], s[48:49], 26
	s_mov_b32 s11, s19
	s_add_nc_u64 s[42:43], s[0:1], s[4:5]
	s_add_co_i32 s33, s33, -1
	s_and_b32 s10, s30, 0x3ffffff
	s_lshr_b64 s[0:1], s[42:43], 26
	s_cmp_lg_u32 s33, 0
	s_add_nc_u64 s[26:27], s[0:1], s[10:11]
	s_cbranch_scc1 .LBB0_9
; %bb.10:
	v_readlane_b32 s0, v17, 6
	v_readlane_b32 s1, v17, 7
	s_and_b64 s[4:5], s[14:15], 0x3fffff
	s_and_b32 s40, s66, 0x3ffffff
	s_mov_b32 s19, 0
	s_and_b32 s14, s0, 0x3ffffff
	v_readlane_b32 s0, v17, 4
	v_readlane_b32 s1, v17, 5
	s_and_b32 s18, s42, 0x3ffffff
	s_and_b32 s42, s20, 0x3ffffff
	s_mov_b32 s43, s19
	s_and_b32 s66, s0, 0x3ffffff
	v_readlane_b32 s0, v17, 2
	s_mov_b32 s15, s19
	s_and_b32 s10, s6, 0x3ffffff
	s_mov_b32 s11, s19
	s_mov_b32 s67, s19
	s_mul_u64 s[20:21], s[42:43], s[14:15]
	s_mul_u64 s[30:31], s[10:11], s[66:67]
	s_and_b32 s68, s52, 0x3ffffff
	s_mov_b32 s69, s19
	s_and_b32 s8, s0, 0x3ffffff
	s_mov_b32 s9, s19
	v_readlane_b32 s1, v17, 3
	s_and_b32 s6, s50, 0x3ffffff
	s_mov_b32 s7, s19
	s_and_b32 s0, s46, 0x3ffffff
	s_mov_b32 s1, s19
	s_mul_u64 s[34:35], s[68:69], s[8:9]
	s_add_nc_u64 s[20:21], s[30:31], s[20:21]
	s_mul_u64 s[36:37], s[6:7], s[0:1]
	s_and_b32 s12, s12, 0x3ffffff
	s_mov_b32 s13, s19
	s_add_nc_u64 s[20:21], s[20:21], s[34:35]
	v_readlane_b32 s30, v17, 0
	s_and_b32 s70, s44, 0x3ffffff
	s_mov_b32 s71, s19
	s_and_b32 s64, s64, 0x3ffffff
	s_mov_b32 s65, s19
	s_mul_u64 s[44:45], s[12:13], s[22:23]
	s_add_nc_u64 s[20:21], s[20:21], s[36:37]
	s_and_b64 s[16:17], s[48:49], 0x3ffffff
	s_mul_u64 s[48:49], s[70:71], s[64:65]
	s_add_nc_u64 s[20:21], s[20:21], s[44:45]
	s_and_b32 s2, s2, 0x3fffff
	s_mov_b32 s3, s19
	s_and_b32 s38, s30, 0x3ffffff
	s_mov_b32 s39, s19
	v_readlane_b32 s31, v17, 1
	s_add_nc_u64 s[34:35], s[20:21], s[48:49]
	v_readlane_b32 s20, v17, 8
	s_mul_u64 s[30:31], s[2:3], s[38:39]
	s_mov_b32 s41, s19
	s_mul_u64 s[24:25], s[16:17], s[4:5]
	s_add_nc_u64 s[30:31], s[34:35], s[30:31]
	v_readlane_b32 s21, v17, 9
	s_mul_u64 s[28:29], s[18:19], s[40:41]
	s_and_b32 s20, s20, 0x3ffffff
	s_mov_b32 s21, s19
	s_add_nc_u64 s[24:25], s[30:31], s[24:25]
	s_mul_u64 s[30:31], s[26:27], s[20:21]
	s_add_nc_u64 s[24:25], s[24:25], s[28:29]
	s_mul_u64 s[28:29], s[42:43], s[20:21]
	;; [unrolled: 2-line block ×3, first 2 shown]
	s_mul_u64 s[34:35], s[68:69], s[66:67]
	s_add_nc_u64 s[28:29], s[30:31], s[28:29]
	s_mul_u64 s[30:31], s[6:7], s[8:9]
	s_add_nc_u64 s[28:29], s[28:29], s[34:35]
	s_mul_u64 s[34:35], s[12:13], s[0:1]
	s_add_nc_u64 s[28:29], s[28:29], s[30:31]
	s_mul_u64 s[30:31], s[70:71], s[22:23]
	s_add_nc_u64 s[28:29], s[28:29], s[34:35]
	s_mul_u64 s[34:35], s[2:3], s[64:65]
	s_add_nc_u64 s[28:29], s[28:29], s[30:31]
	s_mul_u64 s[30:31], s[18:19], s[4:5]
	s_add_nc_u64 s[28:29], s[28:29], s[34:35]
	s_mul_u64 s[34:35], s[26:27], s[40:41]
	s_add_nc_u64 s[28:29], s[28:29], s[30:31]
	s_lshr_b64 s[30:31], s[24:25], 26
	s_add_nc_u64 s[28:29], s[28:29], s[34:35]
	s_and_b32 s44, s24, 0x3ffffff
	s_add_nc_u64 s[28:29], s[28:29], s[30:31]
	s_mov_b32 s25, s19
	s_and_b32 s24, s28, 0x3ffffff
	s_mul_u64 s[30:31], s[16:17], s[38:39]
	s_mul_u64 s[34:35], s[24:25], 0x3d10
	;; [unrolled: 1-line block ×3, first 2 shown]
	s_add_nc_u64 s[72:73], s[34:35], s[30:31]
	s_mul_u64 s[34:35], s[42:43], s[40:41]
	s_mul_u64 s[48:49], s[68:69], s[14:15]
	s_add_nc_u64 s[34:35], s[36:37], s[34:35]
	s_mul_u64 s[36:37], s[6:7], s[66:67]
	s_add_nc_u64 s[34:35], s[34:35], s[48:49]
	;; [unrolled: 2-line block ×6, first 2 shown]
	s_lshr_b64 s[28:29], s[28:29], 26
	s_add_nc_u64 s[34:35], s[34:35], s[36:37]
	s_mul_u64 s[36:37], s[16:17], s[64:65]
	s_add_nc_u64 s[28:29], s[34:35], s[28:29]
	s_mul_u64 s[34:35], s[18:19], s[38:39]
	s_lshl_b64 s[24:25], s[24:25], 10
	s_add_nc_u64 s[34:35], s[34:35], s[36:37]
	s_lshr_b64 s[30:31], s[72:73], 26
	s_and_b32 s50, s28, 0x3ffffff
	s_mov_b32 s51, s19
	s_add_nc_u64 s[24:25], s[34:35], s[24:25]
	s_mul_u64 s[34:35], s[50:51], 0x3d10
	s_add_nc_u64 s[24:25], s[24:25], s[30:31]
	s_mul_u64 s[30:31], s[42:43], s[4:5]
	;; [unrolled: 2-line block ×3, first 2 shown]
	s_mul_u64 s[36:37], s[68:69], s[20:21]
	s_add_nc_u64 s[30:31], s[34:35], s[30:31]
	s_mul_u64 s[34:35], s[6:7], s[14:15]
	s_add_nc_u64 s[30:31], s[30:31], s[36:37]
	s_mul_u64 s[36:37], s[12:13], s[66:67]
	s_add_nc_u64 s[30:31], s[30:31], s[34:35]
	s_mul_u64 s[34:35], s[70:71], s[8:9]
	s_add_nc_u64 s[30:31], s[30:31], s[36:37]
	s_mul_u64 s[36:37], s[2:3], s[0:1]
	s_add_nc_u64 s[30:31], s[30:31], s[34:35]
	s_lshr_b64 s[28:29], s[28:29], 26
	s_mul_u64 s[34:35], s[16:17], s[22:23]
	s_add_nc_u64 s[30:31], s[30:31], s[36:37]
	s_mul_u64 s[36:37], s[18:19], s[64:65]
	s_add_nc_u64 s[28:29], s[30:31], s[28:29]
	;; [unrolled: 2-line block ×3, first 2 shown]
	s_lshl_b64 s[24:25], s[50:51], 10
	s_and_b32 s52, s28, 0x3ffffff
	s_mov_b32 s53, s19
	s_add_nc_u64 s[30:31], s[34:35], s[30:31]
	s_mul_u64 s[34:35], s[52:53], 0x3d10
	s_add_nc_u64 s[24:25], s[30:31], s[24:25]
	s_lshr_b64 s[30:31], s[48:49], 26
	s_add_nc_u64 s[24:25], s[24:25], s[34:35]
	s_mul_u64 s[36:37], s[10:11], s[4:5]
	s_add_nc_u64 s[50:51], s[24:25], s[30:31]
	s_lshl_b64 s[24:25], s[52:53], 10
	s_mul_u64 s[52:53], s[68:69], s[40:41]
	s_mul_u64 s[54:55], s[6:7], s[20:21]
	s_add_nc_u64 s[36:37], s[52:53], s[36:37]
	s_mul_u64 s[52:53], s[12:13], s[14:15]
	s_add_nc_u64 s[36:37], s[36:37], s[54:55]
	;; [unrolled: 2-line block ×5, first 2 shown]
	s_mul_u64 s[52:53], s[42:43], s[38:39]
	s_lshr_b64 s[28:29], s[28:29], 26
	s_mul_u64 s[34:35], s[18:19], s[22:23]
	s_add_nc_u64 s[30:31], s[30:31], s[52:53]
	s_mul_u64 s[56:57], s[68:69], s[4:5]
	s_mul_u64 s[58:59], s[6:7], s[40:41]
	;; [unrolled: 1-line block ×3, first 2 shown]
	s_add_nc_u64 s[28:29], s[36:37], s[28:29]
	s_add_nc_u64 s[30:31], s[30:31], s[34:35]
	s_mul_u64 s[60:61], s[12:13], s[20:21]
	s_add_nc_u64 s[56:57], s[58:59], s[56:57]
	s_and_b32 s36, s28, 0x3ffffff
	s_mov_b32 s37, s19
	s_add_nc_u64 s[30:31], s[30:31], s[54:55]
	s_mul_u64 s[58:59], s[70:71], s[14:15]
	s_add_nc_u64 s[56:57], s[56:57], s[60:61]
	s_mul_u64 s[34:35], s[36:37], 0x3d10
	;; [unrolled: 2-line block ×4, first 2 shown]
	s_lshr_b64 s[30:31], s[50:51], 26
	s_add_nc_u64 s[24:25], s[24:25], s[34:35]
	s_mul_u64 s[34:35], s[16:17], s[8:9]
	s_mul_u64 s[60:61], s[2:3], s[66:67]
	s_add_nc_u64 s[54:55], s[58:59], s[54:55]
	s_lshr_b64 s[28:29], s[28:29], 26
	s_add_nc_u64 s[46:47], s[24:25], s[30:31]
	s_lshl_b64 s[30:31], s[36:37], 10
	s_mul_u64 s[36:37], s[18:19], s[0:1]
	s_add_nc_u64 s[56:57], s[56:57], s[60:61]
	s_add_nc_u64 s[34:35], s[54:55], s[34:35]
	s_mul_u64 s[52:53], s[26:27], s[22:23]
	s_add_nc_u64 s[28:29], s[56:57], s[28:29]
	s_add_nc_u64 s[34:35], s[34:35], s[36:37]
	s_and_b32 s54, s28, 0x3ffffff
	s_mov_b32 s55, s19
	s_add_nc_u64 s[34:35], s[34:35], s[52:53]
	s_mul_u64 s[36:37], s[54:55], 0x3d10
	s_add_nc_u64 s[30:31], s[34:35], s[30:31]
	s_mul_u64 s[56:57], s[42:43], s[22:23]
	s_mul_u64 s[58:59], s[10:11], s[64:65]
	;; [unrolled: 1-line block ×4, first 2 shown]
	s_lshr_b64 s[34:35], s[46:47], 26
	s_add_nc_u64 s[30:31], s[30:31], s[36:37]
	s_mul_u64 s[60:61], s[68:69], s[38:39]
	s_mul_u64 s[76:77], s[70:71], s[20:21]
	s_add_nc_u64 s[62:63], s[74:75], s[62:63]
	s_add_nc_u64 s[56:57], s[58:59], s[56:57]
	;; [unrolled: 1-line block ×3, first 2 shown]
	s_mul_u64 s[34:35], s[16:17], s[66:67]
	s_mul_u64 s[74:75], s[2:3], s[14:15]
	s_add_nc_u64 s[62:63], s[62:63], s[76:77]
	s_add_nc_u64 s[56:57], s[56:57], s[60:61]
	s_lshr_b64 s[36:37], s[28:29], 26
	s_mul_u64 s[52:53], s[18:19], s[8:9]
	s_add_nc_u64 s[58:59], s[62:63], s[74:75]
	s_add_nc_u64 s[34:35], s[56:57], s[34:35]
	s_lshl_b64 s[30:31], s[54:55], 10
	s_mul_u64 s[54:55], s[26:27], s[0:1]
	s_add_nc_u64 s[36:37], s[58:59], s[36:37]
	s_add_nc_u64 s[34:35], s[34:35], s[52:53]
	s_mul_u64 s[58:59], s[42:43], s[0:1]
	s_mul_u64 s[60:61], s[10:11], s[22:23]
	s_and_b32 s56, s36, 0x3ffffff
	s_mov_b32 s57, s19
	s_add_nc_u64 s[34:35], s[34:35], s[54:55]
	s_mul_u64 s[62:63], s[68:69], s[64:65]
	s_add_nc_u64 s[58:59], s[60:61], s[58:59]
	s_mul_u64 s[52:53], s[56:57], 0x3d10
	;; [unrolled: 2-line block ×3, first 2 shown]
	s_mul_u64 s[76:77], s[12:13], s[4:5]
	s_mul_u64 s[78:79], s[70:71], s[40:41]
	s_add_nc_u64 s[58:59], s[58:59], s[62:63]
	s_add_nc_u64 s[30:31], s[30:31], s[52:53]
	s_mul_u64 s[52:53], s[16:17], s[14:15]
	s_mul_u64 s[80:81], s[2:3], s[20:21]
	s_add_nc_u64 s[60:61], s[78:79], s[76:77]
	s_add_nc_u64 s[58:59], s[58:59], s[74:75]
	s_lshr_b64 s[34:35], s[24:25], 26
	s_lshr_b64 s[36:37], s[36:37], 26
	s_mul_u64 s[54:55], s[18:19], s[66:67]
	s_add_nc_u64 s[60:61], s[60:61], s[80:81]
	s_add_nc_u64 s[52:53], s[58:59], s[52:53]
	;; [unrolled: 1-line block ×3, first 2 shown]
	s_lshl_b64 s[34:35], s[56:57], 10
	s_mul_u64 s[56:57], s[26:27], s[8:9]
	s_add_nc_u64 s[36:37], s[60:61], s[36:37]
	s_add_nc_u64 s[52:53], s[52:53], s[54:55]
	s_and_b32 s58, s36, 0x3ffffff
	s_mov_b32 s59, s19
	s_add_nc_u64 s[52:53], s[52:53], s[56:57]
	s_mul_u64 s[54:55], s[58:59], 0x3d10
	s_add_nc_u64 s[34:35], s[52:53], s[34:35]
	s_mul_u64 s[60:61], s[42:43], s[8:9]
	s_mul_u64 s[62:63], s[10:11], s[0:1]
	s_lshr_b64 s[52:53], s[28:29], 26
	s_add_nc_u64 s[34:35], s[34:35], s[54:55]
	s_mul_u64 s[74:75], s[68:69], s[22:23]
	s_add_nc_u64 s[60:61], s[62:63], s[60:61]
	s_lshr_b64 s[54:55], s[36:37], 26
	s_add_nc_u64 s[36:37], s[34:35], s[52:53]
	s_mul_u64 s[52:53], s[16:17], s[20:21]
	s_mul_u64 s[76:77], s[6:7], s[64:65]
	s_add_nc_u64 s[60:61], s[60:61], s[74:75]
	s_mul_u64 s[74:75], s[2:3], s[40:41]
	s_mul_u64 s[16:17], s[16:17], s[40:41]
	s_mul_u64 s[40:41], s[42:43], s[66:67]
	s_mul_u64 s[8:9], s[10:11], s[8:9]
	s_mul_u64 s[78:79], s[12:13], s[38:39]
	s_add_nc_u64 s[60:61], s[60:61], s[76:77]
	s_mul_u64 s[0:1], s[68:69], s[0:1]
	s_add_nc_u64 s[8:9], s[8:9], s[40:41]
	s_mul_u64 s[62:63], s[70:71], s[4:5]
	;; [unrolled: 2-line block ×4, first 2 shown]
	s_add_nc_u64 s[62:63], s[74:75], s[62:63]
	s_add_nc_u64 s[52:53], s[60:61], s[52:53]
	s_mul_u64 s[8:9], s[12:13], s[64:65]
	s_add_nc_u64 s[0:1], s[0:1], s[6:7]
	s_lshl_b64 s[34:35], s[58:59], 10
	s_mul_u64 s[58:59], s[26:27], s[66:67]
	s_add_nc_u64 s[54:55], s[62:63], s[54:55]
	s_add_nc_u64 s[52:53], s[52:53], s[56:57]
	s_mul_u64 s[6:7], s[70:71], s[38:39]
	s_add_nc_u64 s[0:1], s[0:1], s[8:9]
	s_and_b32 s60, s54, 0x3ffffff
	s_mov_b32 s61, s19
	s_add_nc_u64 s[52:53], s[52:53], s[58:59]
	s_add_nc_u64 s[0:1], s[0:1], s[6:7]
	s_mul_u64 s[56:57], s[60:61], 0x3d10
	s_add_nc_u64 s[34:35], s[52:53], s[34:35]
	s_lshr_b64 s[54:55], s[54:55], 26
	s_mul_u64 s[20:21], s[18:19], s[20:21]
	s_mul_u64 s[2:3], s[2:3], s[4:5]
	s_add_nc_u64 s[0:1], s[0:1], s[16:17]
	s_lshr_b64 s[52:53], s[36:37], 26
	s_add_nc_u64 s[34:35], s[34:35], s[56:57]
	s_mul_u64 s[8:9], s[26:27], s[14:15]
	s_add_nc_u64 s[2:3], s[54:55], s[2:3]
	s_add_nc_u64 s[0:1], s[0:1], s[20:21]
	;; [unrolled: 1-line block ×3, first 2 shown]
	s_lshl_b64 s[52:53], s[60:61], 10
	s_and_b32 s18, s2, 0x3ffffff
	s_add_nc_u64 s[0:1], s[0:1], s[8:9]
	s_mul_u64 s[4:5], s[18:19], 0x3d10
	s_add_nc_u64 s[0:1], s[0:1], s[52:53]
	s_lshr_b64 s[6:7], s[30:31], 26
	s_add_nc_u64 s[0:1], s[0:1], s[4:5]
	s_lshr_b64 s[2:3], s[2:3], 26
	s_mov_b32 s45, s19
	s_add_nc_u64 s[68:69], s[0:1], s[6:7]
	s_mul_u64 s[0:1], s[2:3], 0x3d10
	s_lshl_b64 s[4:5], s[18:19], 10
	s_add_nc_u64 s[0:1], s[0:1], s[44:45]
	s_lshr_b64 s[6:7], s[68:69], 26
	s_add_nc_u64 s[0:1], s[0:1], s[4:5]
	s_lshl_b64 s[2:3], s[2:3], 14
	s_add_nc_u64 s[14:15], s[0:1], s[6:7]
	s_and_b32 s0, s72, 0x3ffffff
	s_lshr_b64 s[4:5], s[14:15], 22
	s_mov_b32 s1, s19
	s_add_nc_u64 s[2:3], s[4:5], s[2:3]
	s_and_b32 s4, s48, 0x3ffffff
	s_mul_u64 s[6:7], s[2:3], 0x3d1
	s_mov_b32 s5, s19
	s_add_nc_u64 s[26:27], s[6:7], s[0:1]
	s_lshl_b64 s[0:1], s[2:3], 6
	s_lshr_b64 s[2:3], s[26:27], 26
	s_add_nc_u64 s[0:1], s[0:1], s[4:5]
	s_and_b32 s4, s50, 0x3ffffff
	s_add_nc_u64 s[38:39], s[0:1], s[2:3]
	s_mov_b32 s33, 22
	s_lshr_b64 s[0:1], s[38:39], 26
	s_mov_b64 s[50:51], s[26:27]
	s_add_nc_u64 s[22:23], s[0:1], s[4:5]
	s_mov_b32 s0, s24
	v_writelane_b32 v17, s22, 2
	s_mov_b64 s[48:49], s[38:39]
	s_mov_b64 s[16:17], s[46:47]
	;; [unrolled: 1-line block ×4, first 2 shown]
	v_writelane_b32 v17, s23, 3
	s_mov_b64 s[20:21], s[36:37]
	s_mov_b64 s[12:13], s[30:31]
	;; [unrolled: 1-line block ×3, first 2 shown]
	v_writelane_b32 v17, s0, 4
	v_writelane_b32 v17, s1, 5
	s_mov_b32 s0, s28
	s_delay_alu instid0(SALU_CYCLE_1) | instskip(SKIP_2) | instid1(SALU_CYCLE_1)
	v_writelane_b32 v17, s0, 8
	v_writelane_b32 v17, s1, 9
	s_mov_b32 s0, s36
	v_writelane_b32 v17, s0, 0
	v_writelane_b32 v17, s1, 1
	s_mov_b32 s0, s30
	s_delay_alu instid0(SALU_CYCLE_1)
	v_writelane_b32 v17, s0, 6
	v_writelane_b32 v17, s1, 7
	s_mov_b64 s[0:1], s[14:15]
.LBB0_11:                               ; =>This Inner Loop Header: Depth=1
	s_lshl_b32 s24, s16, 1
	s_lshl_b32 s27, s6, 1
	s_and_b64 s[0:1], s[0:1], 0x3fffff
	s_lshl_b32 s25, s48, 1
	s_and_b32 s2, s40, 0x3ffffff
	s_mov_b32 s3, s19
	s_lshl_b32 s64, s22, 1
	s_mov_b32 s65, s19
	s_and_b32 s8, s12, 0x3ffffff
	s_mov_b32 s9, s19
	s_mov_b32 s17, s19
	s_and_b32 s10, s20, 0x3ffffff
	s_mov_b32 s11, s19
	;; [unrolled: 3-line block ×3, first 2 shown]
	s_lshl_b32 s28, s44, 1
	s_and_b32 s70, s16, 0x3ffffff
	s_mov_b32 s71, s19
	s_and_b32 s60, s6, 0x3ffffff
	s_mov_b32 s61, s19
	s_lshl_b32 s29, s40, 1
	s_and_b32 s16, s24, 0x7fffffe
	s_and_b32 s40, s27, 0x7fffffe
	s_lshl_b32 s4, s50, 1
	s_and_b64 s[62:63], s[50:51], 0x3ffffff
	s_mov_b32 s51, s19
	s_and_b32 s6, s25, 0x7fffffe
	s_mul_u64 s[86:87], s[8:9], s[64:65]
	s_mul_u64 s[78:79], s[2:3], s[64:65]
	;; [unrolled: 1-line block ×3, first 2 shown]
	s_and_b32 s50, s28, 0x7fffffe
	s_mul_u64 s[96:97], s[64:65], s[70:71]
	s_mul_u64 s[98:99], s[60:61], s[64:65]
	;; [unrolled: 1-line block ×3, first 2 shown]
	s_mul_u64 vcc, s[42:43], s[64:65]
	s_mul_u64 s[24:25], s[10:11], s[64:65]
	s_mul_u64 s[64:65], s[10:11], s[16:17]
	;; [unrolled: 1-line block ×3, first 2 shown]
	s_and_b32 s48, s48, 0x3ffffff
	s_mov_b32 s49, s19
	s_lshl_b32 s20, s20, 1
	s_and_b32 s18, s4, 0x7fffffe
	s_mul_u64 s[88:89], s[42:43], s[42:43]
	s_mul_u64 s[34:35], s[10:11], s[40:41]
	s_add_nc_u64 s[98:99], s[98:99], s[100:101]
	s_mul_u64 s[100:101], s[8:9], s[40:41]
	s_add_nc_u64 s[30:31], s[64:65], s[30:31]
	s_mul_u64 s[64:65], s[50:51], s[10:11]
	s_mov_b32 s73, s19
	s_mul_u64 s[90:91], s[48:49], s[48:49]
	s_mul_u64 s[92:93], s[10:11], s[10:11]
	s_and_b32 s72, s20, 0x7fffffe
	s_add_nc_u64 s[34:35], s[34:35], s[88:89]
	s_mul_u64 s[88:89], s[8:9], s[50:51]
	s_add_nc_u64 s[100:101], s[100:101], s[64:65]
	s_mul_u64 s[64:65], s[18:19], s[22:23]
	s_mov_b32 s7, s19
	s_add_nc_u64 s[92:93], s[88:89], s[92:93]
	s_mul_u64 s[36:37], s[2:3], s[50:51]
	s_add_nc_u64 s[88:89], s[64:65], s[90:91]
	s_mul_u64 s[64:65], s[72:73], s[8:9]
	s_mul_u64 s[74:75], s[22:23], s[22:23]
	s_lshl_b32 s12, s12, 1
	s_add_nc_u64 s[36:37], s[36:37], s[64:65]
	s_mul_u64 s[64:65], s[70:71], s[18:19]
	s_mul_u64 s[22:23], s[6:7], s[22:23]
	s_mov_b32 s83, s19
	s_mul_u64 s[94:95], s[8:9], s[8:9]
	s_and_b32 s82, s12, 0x7fffffe
	s_add_nc_u64 s[64:65], s[64:65], s[22:23]
	s_mul_u64 s[22:23], s[2:3], s[72:73]
	s_mul_u64 s[70:71], s[70:71], s[6:7]
	;; [unrolled: 1-line block ×3, first 2 shown]
	s_add_nc_u64 s[90:91], s[22:23], s[94:95]
	s_mul_u64 s[22:23], s[82:83], s[2:3]
	s_add_nc_u64 s[74:75], s[70:71], s[74:75]
	s_add_nc_u64 s[70:71], s[72:73], s[22:23]
	s_mul_u64 s[22:23], s[60:61], s[6:7]
	s_mul_u64 s[102:103], s[2:3], s[2:3]
	;; [unrolled: 1-line block ×3, first 2 shown]
	s_add_nc_u64 s[82:83], s[22:23], s[96:97]
	s_mul_u64 s[96:97], s[42:43], s[6:7]
	s_add_nc_u64 s[30:31], s[30:31], s[86:87]
	s_mul_u64 s[86:87], s[8:9], s[16:17]
	s_and_b32 s84, s29, 0x7fffffe
	s_mul_u64 s[28:29], s[60:61], s[60:61]
	s_add_nc_u64 s[22:23], s[72:73], s[102:103]
	s_mul_u64 s[72:73], s[16:17], s[60:61]
	s_add_nc_u64 s[96:97], s[98:99], s[96:97]
	;; [unrolled: 2-line block ×3, first 2 shown]
	s_mul_u64 s[86:87], s[2:3], s[16:17]
	s_add_nc_u64 s[72:73], vcc, s[72:73]
	s_mul_u64 s[102:103], s[2:3], s[6:7]
	s_add_nc_u64 s[28:29], s[98:99], s[28:29]
	s_add_nc_u64 s[86:87], s[100:101], s[86:87]
	s_mul_u64 s[100:101], s[10:11], s[18:19]
	s_mul_u64 s[10:11], s[10:11], s[6:7]
	s_mov_b32 s85, s19
	s_mul_u64 s[94:95], s[0:1], s[18:19]
	s_mul_u64 s[98:99], s[0:1], s[6:7]
	;; [unrolled: 1-line block ×4, first 2 shown]
	s_add_nc_u64 s[10:11], s[72:73], s[10:11]
	s_add_nc_u64 s[24:25], s[28:29], s[24:25]
	;; [unrolled: 1-line block ×3, first 2 shown]
	s_mul_u64 s[76:77], s[62:63], s[62:63]
	s_mul_u64 s[62:63], s[0:1], s[0:1]
	;; [unrolled: 1-line block ×8, first 2 shown]
	s_add_nc_u64 s[30:31], s[34:35], s[78:79]
	s_add_nc_u64 s[8:9], s[10:11], s[8:9]
	;; [unrolled: 1-line block ×6, first 2 shown]
	s_lshr_b64 s[6:7], s[10:11], 26
	s_mov_b32 s13, s19
	s_add_nc_u64 s[6:7], s[24:25], s[6:7]
	s_add_nc_u64 s[34:35], s[86:87], s[80:81]
	s_and_b32 s12, s6, 0x3ffffff
	s_lshr_b64 s[6:7], s[6:7], 26
	s_add_nc_u64 s[40:41], s[92:93], s[40:41]
	s_mul_u64 s[24:25], s[12:13], 0x3d10
	s_add_nc_u64 s[6:7], s[34:35], s[6:7]
	s_mul_u64 s[48:49], s[18:19], s[48:49]
	s_add_nc_u64 s[16:17], s[40:41], s[16:17]
	s_lshl_b64 s[12:13], s[12:13], 10
	s_add_nc_u64 s[24:25], s[24:25], s[76:77]
	s_and_b32 s44, s6, 0x3ffffff
	s_lshr_b64 s[6:7], s[6:7], 26
	s_mov_b32 s45, s19
	s_add_nc_u64 s[12:13], s[12:13], s[48:49]
	s_lshr_b64 s[28:29], s[24:25], 26
	s_add_nc_u64 s[6:7], s[16:17], s[6:7]
	s_mov_b32 s21, s19
	s_add_nc_u64 s[0:1], s[36:37], s[0:1]
	s_mul_u64 s[30:31], s[44:45], 0x3d10
	s_lshl_b64 s[34:35], s[44:45], 10
	s_add_nc_u64 s[12:13], s[12:13], s[28:29]
	s_and_b32 s20, s6, 0x3ffffff
	s_lshr_b64 s[6:7], s[6:7], 26
	s_add_nc_u64 s[16:17], s[88:89], s[34:35]
	s_add_nc_u64 s[28:29], s[12:13], s[30:31]
	s_mul_u64 s[12:13], s[20:21], 0x3d10
	s_add_nc_u64 s[0:1], s[0:1], s[6:7]
	s_mov_b32 s53, s19
	s_add_nc_u64 s[36:37], s[90:91], s[50:51]
	s_lshl_b64 s[20:21], s[20:21], 10
	s_lshr_b64 s[6:7], s[28:29], 26
	s_add_nc_u64 s[12:13], s[16:17], s[12:13]
	s_and_b32 s52, s0, 0x3ffffff
	s_lshr_b64 s[0:1], s[0:1], 26
	s_mul_u64 s[60:61], s[60:61], s[18:19]
	s_add_nc_u64 s[16:17], s[64:65], s[20:21]
	s_add_nc_u64 s[30:31], s[12:13], s[6:7]
	s_mul_u64 s[6:7], s[52:53], 0x3d10
	s_add_nc_u64 s[0:1], s[36:37], s[0:1]
	s_mov_b32 s55, s19
	s_add_nc_u64 s[50:51], s[74:75], s[60:61]
	s_lshl_b64 s[12:13], s[52:53], 10
	s_lshr_b64 s[20:21], s[30:31], 26
	s_add_nc_u64 s[6:7], s[16:17], s[6:7]
	s_and_b32 s54, s0, 0x3ffffff
	s_lshr_b64 s[0:1], s[0:1], 26
	s_mul_u64 s[42:43], s[42:43], s[18:19]
	s_add_nc_u64 s[12:13], s[50:51], s[12:13]
	s_add_nc_u64 s[16:17], s[6:7], s[20:21]
	s_mul_u64 s[6:7], s[54:55], 0x3d10
	s_add_nc_u64 s[0:1], s[70:71], s[0:1]
	s_mov_b32 s67, s19
	s_add_nc_u64 s[42:43], s[82:83], s[42:43]
	s_lshl_b64 s[20:21], s[54:55], 10
	s_lshr_b64 s[34:35], s[16:17], 26
	s_add_nc_u64 s[6:7], s[12:13], s[6:7]
	s_and_b32 s66, s0, 0x3ffffff
	s_lshr_b64 s[0:1], s[0:1], 26
	s_add_nc_u64 s[12:13], s[42:43], s[20:21]
	s_add_nc_u64 s[6:7], s[6:7], s[34:35]
	s_mul_u64 s[20:21], s[66:67], 0x3d10
	s_add_nc_u64 s[0:1], s[22:23], s[0:1]
	s_mov_b32 s57, s19
	s_add_nc_u64 s[60:61], s[96:97], s[100:101]
	s_lshl_b64 s[34:35], s[66:67], 10
	s_lshr_b64 s[22:23], s[6:7], 26
	s_add_nc_u64 s[12:13], s[12:13], s[20:21]
	s_and_b32 s56, s0, 0x3ffffff
	s_lshr_b64 s[0:1], s[0:1], 26
	s_add_nc_u64 s[20:21], s[60:61], s[34:35]
	s_add_nc_u64 s[44:45], s[12:13], s[22:23]
	s_mul_u64 s[12:13], s[56:57], 0x3d10
	s_add_nc_u64 s[0:1], s[0:1], s[84:85]
	s_mov_b32 s59, s19
	s_lshl_b64 s[22:23], s[56:57], 10
	s_lshr_b64 s[34:35], s[44:45], 26
	s_add_nc_u64 s[12:13], s[20:21], s[12:13]
	s_and_b32 s58, s0, 0x3ffffff
	s_lshr_b64 s[0:1], s[0:1], 26
	s_add_nc_u64 s[8:9], s[8:9], s[22:23]
	s_add_nc_u64 s[20:21], s[12:13], s[34:35]
	s_mul_u64 s[12:13], s[58:59], 0x3d10
	s_add_nc_u64 s[0:1], s[0:1], s[62:63]
	s_lshl_b64 s[22:23], s[58:59], 10
	s_lshr_b64 s[34:35], s[20:21], 26
	s_add_nc_u64 s[8:9], s[8:9], s[12:13]
	s_and_b32 s18, s0, 0x3ffffff
	s_lshr_b64 s[36:37], s[0:1], 26
	s_add_nc_u64 s[0:1], s[2:3], s[22:23]
	s_add_nc_u64 s[12:13], s[8:9], s[34:35]
	s_mul_u64 s[2:3], s[18:19], 0x3d10
	s_and_b64 s[10:11], s[10:11], 0x3fffffe
	s_mul_u64 s[22:23], s[36:37], 0x3d10
	s_lshr_b64 s[34:35], s[12:13], 26
	s_add_nc_u64 s[0:1], s[0:1], s[2:3]
	s_lshl_b64 s[8:9], s[18:19], 10
	s_add_nc_u64 s[2:3], s[22:23], s[10:11]
	s_add_nc_u64 s[40:41], s[0:1], s[34:35]
	;; [unrolled: 1-line block ×3, first 2 shown]
	s_lshr_b64 s[2:3], s[40:41], 26
	s_and_b64 s[22:23], s[24:25], 0x3fffffd
	s_add_nc_u64 s[0:1], s[0:1], s[2:3]
	s_lshl_b64 s[2:3], s[36:37], 14
	s_lshr_b64 s[10:11], s[0:1], 22
	s_mov_b32 s5, s19
	s_add_nc_u64 s[2:3], s[10:11], s[2:3]
	s_and_b32 s4, s28, 0x3ffffff
	s_mul_u64 s[10:11], s[2:3], 0x3d1
	s_lshl_b64 s[2:3], s[2:3], 6
	s_add_nc_u64 s[50:51], s[10:11], s[22:23]
	s_add_nc_u64 s[2:3], s[2:3], s[4:5]
	s_lshr_b64 s[4:5], s[50:51], 26
	s_mov_b32 s9, s19
	s_add_nc_u64 s[48:49], s[2:3], s[4:5]
	s_add_co_i32 s33, s33, -1
	s_and_b32 s8, s30, 0x3ffffff
	s_lshr_b64 s[2:3], s[48:49], 26
	s_cmp_lg_u32 s33, 0
	s_add_nc_u64 s[22:23], s[2:3], s[8:9]
	s_cbranch_scc1 .LBB0_11
; %bb.12:
	v_readlane_b32 s2, v17, 0
	v_readlane_b32 s3, v17, 1
	s_mov_b32 s19, 0
	s_and_b64 s[64:65], s[14:15], 0x3fffff
	s_and_b32 s14, s16, 0x3ffffff
	s_and_b32 s66, s2, 0x3ffffff
	v_readlane_b32 s2, v17, 8
	v_readlane_b32 s3, v17, 9
	s_mov_b32 s15, s19
	s_mov_b32 s67, s19
	s_and_b32 s10, s6, 0x3ffffff
	s_and_b32 s70, s2, 0x3ffffff
	v_readlane_b32 s2, v17, 4
	s_mov_b32 s11, s19
	s_mov_b32 s71, s19
	s_mul_u64 s[28:29], s[14:15], s[66:67]
	s_mul_u64 s[34:35], s[10:11], s[70:71]
	s_and_b32 s16, s44, 0x3ffffff
	s_mov_b32 s17, s19
	s_and_b32 s72, s2, 0x3ffffff
	s_mov_b32 s73, s19
	v_readlane_b32 s62, v17, 2
	v_readlane_b32 s63, v17, 3
	s_and_b32 s6, s20, 0x3ffffff
	s_mov_b32 s7, s19
	s_and_b32 s76, s46, 0x3ffffff
	s_mov_b32 s77, s19
	s_mul_u64 s[20:21], s[16:17], s[72:73]
	s_and_b32 s2, s0, 0x3fffff
	s_add_nc_u64 s[0:1], s[34:35], s[28:29]
	s_mul_u64 s[36:37], s[6:7], s[76:77]
	s_and_b32 s12, s12, 0x3ffffff
	s_mov_b32 s13, s19
	s_add_nc_u64 s[0:1], s[0:1], s[20:21]
	s_and_b32 s30, s40, 0x3ffffff
	s_mov_b32 s31, s19
	s_and_b32 s74, s38, 0x3ffffff
	s_mov_b32 s75, s19
	s_mul_u64 s[38:39], s[12:13], s[62:63]
	s_add_nc_u64 s[0:1], s[0:1], s[36:37]
	v_readlane_b32 s3, v17, 5
	s_mul_u64 s[40:41], s[30:31], s[74:75]
	s_mov_b32 s3, s19
	s_and_b32 s78, s26, 0x3ffffff
	s_mov_b32 s79, s19
	s_add_nc_u64 s[0:1], s[0:1], s[38:39]
	v_readlane_b32 s26, v17, 6
	s_and_b64 s[4:5], s[50:51], 0x3ffffff
	s_mul_u64 s[20:21], s[2:3], s[78:79]
	s_add_nc_u64 s[0:1], s[0:1], s[40:41]
	s_and_b32 s18, s48, 0x3ffffff
	s_and_b32 s68, s68, 0x3ffffff
	s_mov_b32 s69, s19
	s_mul_u64 s[8:9], s[4:5], s[64:65]
	s_add_nc_u64 s[0:1], s[0:1], s[20:21]
	s_mul_u64 s[24:25], s[18:19], s[68:69]
	s_and_b32 s80, s26, 0x3ffffff
	s_mov_b32 s81, s19
	s_add_nc_u64 s[0:1], s[0:1], s[8:9]
	s_mul_u64 s[8:9], s[22:23], s[80:81]
	s_add_nc_u64 s[0:1], s[0:1], s[24:25]
	s_mul_u64 s[20:21], s[10:11], s[66:67]
	;; [unrolled: 2-line block ×3, first 2 shown]
	s_mul_u64 s[24:25], s[16:17], s[70:71]
	s_add_nc_u64 s[8:9], s[20:21], s[8:9]
	s_mul_u64 s[20:21], s[6:7], s[72:73]
	s_add_nc_u64 s[8:9], s[8:9], s[24:25]
	;; [unrolled: 2-line block ×3, first 2 shown]
	s_mul_u64 s[28:29], s[14:15], s[68:69]
	s_mul_u64 s[34:35], s[10:11], s[80:81]
	;; [unrolled: 1-line block ×3, first 2 shown]
	s_add_nc_u64 s[8:9], s[8:9], s[24:25]
	s_mul_u64 s[36:37], s[16:17], s[66:67]
	s_add_nc_u64 s[28:29], s[34:35], s[28:29]
	s_mul_u64 s[24:25], s[2:3], s[74:75]
	;; [unrolled: 2-line block ×7, first 2 shown]
	s_add_nc_u64 s[28:29], s[28:29], s[36:37]
	s_lshr_b64 s[20:21], s[0:1], 26
	s_add_nc_u64 s[8:9], s[8:9], s[24:25]
	s_mul_u64 s[36:37], s[2:3], s[62:63]
	s_add_nc_u64 s[28:29], s[28:29], s[34:35]
	s_add_nc_u64 s[20:21], s[8:9], s[20:21]
	s_mul_u64 s[34:35], s[22:23], s[64:65]
	s_add_nc_u64 s[28:29], s[28:29], s[36:37]
	s_and_b32 s24, s20, 0x3ffffff
	s_mov_b32 s25, s19
	s_lshr_b64 s[20:21], s[20:21], 26
	s_add_nc_u64 s[28:29], s[28:29], s[34:35]
	v_readlane_b32 s27, v17, 7
	s_mul_u64 s[8:9], s[4:5], s[78:79]
	s_mul_u64 s[26:27], s[24:25], 0x3d10
	;; [unrolled: 1-line block ×3, first 2 shown]
	s_add_nc_u64 s[20:21], s[28:29], s[20:21]
	s_mul_u64 s[28:29], s[18:19], s[78:79]
	s_add_nc_u64 s[8:9], s[26:27], s[8:9]
	s_lshl_b64 s[24:25], s[24:25], 10
	s_add_nc_u64 s[28:29], s[28:29], s[34:35]
	s_lshr_b64 s[26:27], s[8:9], 26
	s_and_b32 s36, s20, 0x3ffffff
	s_mov_b32 s37, s19
	s_add_nc_u64 s[24:25], s[28:29], s[24:25]
	s_mul_u64 s[28:29], s[36:37], 0x3d10
	s_add_nc_u64 s[24:25], s[24:25], s[26:27]
	s_lshr_b64 s[26:27], s[20:21], 26
	s_add_nc_u64 s[20:21], s[24:25], s[28:29]
	s_mul_u64 s[28:29], s[14:15], s[64:65]
	s_mul_u64 s[34:35], s[10:11], s[68:69]
	s_lshl_b64 s[24:25], s[36:37], 10
	s_mul_u64 s[36:37], s[16:17], s[80:81]
	s_add_nc_u64 s[28:29], s[34:35], s[28:29]
	s_mul_u64 s[34:35], s[6:7], s[66:67]
	s_add_nc_u64 s[28:29], s[28:29], s[36:37]
	;; [unrolled: 2-line block ×8, first 2 shown]
	s_and_b32 s38, s26, 0x3ffffff
	s_mov_b32 s39, s19
	s_add_nc_u64 s[28:29], s[34:35], s[28:29]
	s_mul_u64 s[34:35], s[38:39], 0x3d10
	s_add_nc_u64 s[24:25], s[28:29], s[24:25]
	s_lshr_b64 s[28:29], s[20:21], 26
	s_add_nc_u64 s[24:25], s[24:25], s[34:35]
	s_mul_u64 s[40:41], s[16:17], s[68:69]
	s_add_nc_u64 s[34:35], s[24:25], s[28:29]
	s_lshl_b64 s[24:25], s[38:39], 10
	s_mul_u64 s[38:39], s[10:11], s[64:65]
	s_mul_u64 s[42:43], s[6:7], s[80:81]
	s_add_nc_u64 s[38:39], s[40:41], s[38:39]
	s_mul_u64 s[40:41], s[12:13], s[66:67]
	s_add_nc_u64 s[38:39], s[38:39], s[42:43]
	;; [unrolled: 2-line block ×5, first 2 shown]
	s_mul_u64 s[40:41], s[14:15], s[78:79]
	s_lshr_b64 s[26:27], s[26:27], 26
	s_mul_u64 s[36:37], s[18:19], s[62:63]
	s_add_nc_u64 s[28:29], s[28:29], s[40:41]
	s_mul_u64 s[42:43], s[22:23], s[74:75]
	s_add_nc_u64 s[26:27], s[38:39], s[26:27]
	s_add_nc_u64 s[28:29], s[28:29], s[36:37]
	s_mul_u64 s[44:45], s[16:17], s[64:65]
	s_mul_u64 s[48:49], s[6:7], s[68:69]
	s_and_b32 s38, s26, 0x3ffffff
	s_mov_b32 s39, s19
	s_add_nc_u64 s[28:29], s[28:29], s[42:43]
	s_mul_u64 s[50:51], s[12:13], s[80:81]
	s_add_nc_u64 s[44:45], s[48:49], s[44:45]
	s_mul_u64 s[36:37], s[38:39], 0x3d10
	;; [unrolled: 2-line block ×3, first 2 shown]
	s_add_nc_u64 s[44:45], s[44:45], s[50:51]
	s_lshr_b64 s[28:29], s[34:35], 26
	s_add_nc_u64 s[24:25], s[24:25], s[36:37]
	s_mul_u64 s[42:43], s[14:15], s[74:75]
	s_add_nc_u64 s[44:45], s[44:45], s[48:49]
	s_mul_u64 s[48:49], s[10:11], s[78:79]
	s_lshr_b64 s[36:37], s[26:27], 26
	s_add_nc_u64 s[26:27], s[24:25], s[28:29]
	s_mul_u64 s[28:29], s[4:5], s[72:73]
	s_mul_u64 s[50:51], s[2:3], s[70:71]
	s_add_nc_u64 s[42:43], s[48:49], s[42:43]
	s_lshl_b64 s[24:25], s[38:39], 10
	s_mul_u64 s[38:39], s[18:19], s[76:77]
	s_add_nc_u64 s[44:45], s[44:45], s[50:51]
	s_add_nc_u64 s[28:29], s[42:43], s[28:29]
	s_mul_u64 s[40:41], s[22:23], s[62:63]
	s_add_nc_u64 s[36:37], s[44:45], s[36:37]
	s_add_nc_u64 s[28:29], s[28:29], s[38:39]
	s_and_b32 s42, s36, 0x3ffffff
	s_mov_b32 s43, s19
	s_add_nc_u64 s[28:29], s[28:29], s[40:41]
	s_mul_u64 s[44:45], s[14:15], s[62:63]
	s_mul_u64 s[48:49], s[10:11], s[74:75]
	s_mul_u64 s[52:53], s[6:7], s[64:65]
	s_mul_u64 s[54:55], s[12:13], s[68:69]
	s_mul_u64 s[38:39], s[42:43], 0x3d10
	s_add_nc_u64 s[24:25], s[28:29], s[24:25]
	s_mul_u64 s[50:51], s[16:17], s[78:79]
	s_mul_u64 s[56:57], s[30:31], s[80:81]
	s_add_nc_u64 s[52:53], s[54:55], s[52:53]
	s_add_nc_u64 s[44:45], s[48:49], s[44:45]
	;; [unrolled: 1-line block ×3, first 2 shown]
	s_mul_u64 s[38:39], s[4:5], s[70:71]
	s_mul_u64 s[54:55], s[2:3], s[66:67]
	s_add_nc_u64 s[52:53], s[52:53], s[56:57]
	s_add_nc_u64 s[44:45], s[44:45], s[50:51]
	s_lshr_b64 s[28:29], s[26:27], 26
	s_lshr_b64 s[36:37], s[36:37], 26
	s_mul_u64 s[40:41], s[18:19], s[72:73]
	s_add_nc_u64 s[48:49], s[52:53], s[54:55]
	s_add_nc_u64 s[38:39], s[44:45], s[38:39]
	;; [unrolled: 1-line block ×3, first 2 shown]
	s_lshl_b64 s[24:25], s[42:43], 10
	s_mul_u64 s[42:43], s[22:23], s[76:77]
	s_add_nc_u64 s[36:37], s[48:49], s[36:37]
	s_add_nc_u64 s[38:39], s[38:39], s[40:41]
	s_and_b32 s44, s36, 0x3ffffff
	s_mov_b32 s45, s19
	s_add_nc_u64 s[38:39], s[38:39], s[42:43]
	s_mul_u64 s[48:49], s[14:15], s[76:77]
	s_mul_u64 s[50:51], s[10:11], s[62:63]
	;; [unrolled: 1-line block ×5, first 2 shown]
	s_add_nc_u64 s[24:25], s[38:39], s[24:25]
	s_mul_u64 s[60:61], s[2:3], s[80:81]
	s_add_nc_u64 s[48:49], s[50:51], s[48:49]
	s_add_nc_u64 s[50:51], s[58:59], s[56:57]
	;; [unrolled: 1-line block ×3, first 2 shown]
	s_lshr_b64 s[40:41], s[36:37], 26
	s_mul_u64 s[52:53], s[16:17], s[74:75]
	s_add_nc_u64 s[50:51], s[50:51], s[60:61]
	s_mul_u64 s[54:55], s[6:7], s[78:79]
	s_add_nc_u64 s[48:49], s[48:49], s[52:53]
	s_add_nc_u64 s[40:41], s[50:51], s[40:41]
	s_mul_u64 s[50:51], s[14:15], s[72:73]
	s_mul_u64 s[52:53], s[10:11], s[76:77]
	s_lshr_b64 s[38:39], s[46:47], 26
	s_add_nc_u64 s[48:49], s[48:49], s[54:55]
	s_mul_u64 s[54:55], s[16:17], s[62:63]
	s_add_nc_u64 s[50:51], s[52:53], s[50:51]
	s_add_nc_u64 s[28:29], s[24:25], s[38:39]
	s_mul_u64 s[38:39], s[4:5], s[66:67]
	s_add_nc_u64 s[50:51], s[50:51], s[54:55]
	s_mul_u64 s[54:55], s[2:3], s[68:69]
	v_writelane_b32 v17, s68, 6
	s_mul_u64 s[42:43], s[18:19], s[70:71]
	s_add_nc_u64 s[38:39], s[48:49], s[38:39]
	s_lshl_b64 s[24:25], s[44:45], 10
	s_mul_u64 s[44:45], s[22:23], s[72:73]
	s_add_nc_u64 s[38:39], s[38:39], s[42:43]
	v_writelane_b32 v17, s69, 7
	s_and_b32 s48, s40, 0x3ffffff
	s_mov_b32 s49, s19
	s_add_nc_u64 s[38:39], s[38:39], s[44:45]
	s_mul_u64 s[42:43], s[48:49], 0x3d10
	s_add_nc_u64 s[24:25], s[38:39], s[24:25]
	s_lshr_b64 s[38:39], s[28:29], 26
	s_add_nc_u64 s[24:25], s[24:25], s[42:43]
	s_mul_u64 s[42:43], s[4:5], s[80:81]
	v_writelane_b32 v17, s80, 10
	s_add_nc_u64 s[36:37], s[24:25], s[38:39]
	s_lshl_b64 s[38:39], s[48:49], 10
	s_mul_u64 s[48:49], s[22:23], s[70:71]
	s_mul_u64 s[56:57], s[6:7], s[74:75]
	v_writelane_b32 v17, s81, 11
	s_mul_u64 s[58:59], s[12:13], s[78:79]
	s_add_nc_u64 s[50:51], s[50:51], s[56:57]
	s_mul_u64 s[44:45], s[18:19], s[66:67]
	s_mul_u64 s[52:53], s[30:31], s[64:65]
	v_writelane_b32 v17, s70, 0
	s_mul_u64 s[14:15], s[14:15], s[70:71]
	s_add_nc_u64 s[50:51], s[50:51], s[58:59]
	s_lshr_b64 s[40:41], s[40:41], 26
	s_add_nc_u64 s[52:53], s[54:55], s[52:53]
	v_writelane_b32 v17, s71, 1
	s_add_nc_u64 s[42:43], s[50:51], s[42:43]
	s_mul_u64 s[6:7], s[6:7], s[62:63]
	s_add_nc_u64 s[40:41], s[52:53], s[40:41]
	s_add_nc_u64 s[42:43], s[42:43], s[44:45]
	v_writelane_b32 v17, s72, 12
	s_mul_u64 s[10:11], s[10:11], s[72:73]
	s_and_b32 s50, s40, 0x3ffffff
	s_add_nc_u64 s[10:11], s[10:11], s[14:15]
	s_mov_b32 s51, s19
	v_writelane_b32 v17, s73, 13
	s_add_nc_u64 s[42:43], s[42:43], s[48:49]
	s_mul_u64 s[44:45], s[50:51], 0x3d10
	s_add_nc_u64 s[38:39], s[42:43], s[38:39]
	s_mul_u64 s[4:5], s[4:5], s[68:69]
	v_writelane_b32 v17, s76, 14
	s_mul_u64 s[16:17], s[16:17], s[76:77]
	s_add_nc_u64 s[38:39], s[38:39], s[44:45]
	s_add_nc_u64 s[10:11], s[10:11], s[16:17]
	s_lshr_b64 s[40:41], s[40:41], 26
	v_writelane_b32 v17, s77, 15
	s_add_nc_u64 s[6:7], s[10:11], s[6:7]
	s_mul_u64 s[44:45], s[18:19], s[80:81]
	s_lshr_b64 s[42:43], s[36:37], 26
	s_and_b32 s0, s0, 0x3ffffff
	v_writelane_b32 v17, s74, 16
	s_mul_u64 s[12:13], s[12:13], s[74:75]
	s_add_nc_u64 s[24:25], s[38:39], s[42:43]
	s_add_nc_u64 s[6:7], s[6:7], s[12:13]
	s_lshl_b64 s[42:43], s[50:51], 10
	v_writelane_b32 v17, s75, 17
	s_mov_b32 s1, s19
	s_mov_b32 s33, 44
	s_mov_b64 s[16:17], s[26:27]
	v_writelane_b32 v17, s78, 18
	s_mul_u64 s[10:11], s[30:31], s[78:79]
	s_delay_alu instid0(SALU_CYCLE_1) | instskip(SKIP_3) | instid1(SALU_CYCLE_1)
	s_add_nc_u64 s[6:7], s[6:7], s[10:11]
	s_lshr_b64 s[10:11], s[24:25], 26
	v_writelane_b32 v17, s79, 19
	s_add_nc_u64 s[4:5], s[6:7], s[4:5]
	s_add_nc_u64 s[4:5], s[4:5], s[44:45]
	v_writelane_b32 v17, s66, 8
	s_mul_u64 s[12:13], s[22:23], s[66:67]
	s_delay_alu instid0(SALU_CYCLE_1)
	s_add_nc_u64 s[4:5], s[4:5], s[12:13]
	s_mov_b64 s[12:13], s[24:25]
	v_writelane_b32 v17, s67, 9
	s_add_nc_u64 s[4:5], s[4:5], s[42:43]
	s_mov_b64 s[42:43], s[28:29]
	v_writelane_b32 v17, s64, 4
	s_mul_u64 s[2:3], s[2:3], s[64:65]
	s_delay_alu instid0(SALU_CYCLE_1) | instskip(NEXT) | instid1(SALU_CYCLE_1)
	s_add_nc_u64 s[2:3], s[40:41], s[2:3]
	s_and_b32 s18, s2, 0x3ffffff
	s_lshr_b64 s[2:3], s[2:3], 26
	s_mul_u64 s[6:7], s[18:19], 0x3d10
	v_writelane_b32 v17, s65, 5
	s_add_nc_u64 s[4:5], s[4:5], s[6:7]
	s_lshl_b64 s[6:7], s[18:19], 10
	s_add_nc_u64 s[30:31], s[4:5], s[10:11]
	s_mul_u64 s[4:5], s[2:3], 0x3d10
	s_lshl_b64 s[2:3], s[2:3], 14
	s_add_nc_u64 s[0:1], s[4:5], s[0:1]
	s_lshr_b64 s[4:5], s[30:31], 26
	s_add_nc_u64 s[0:1], s[0:1], s[6:7]
	s_mov_b64 s[40:41], s[30:31]
	s_add_nc_u64 s[14:15], s[0:1], s[4:5]
	s_and_b32 s0, s8, 0x3ffffff
	s_lshr_b64 s[4:5], s[14:15], 22
	s_mov_b32 s1, s19
	s_add_nc_u64 s[2:3], s[4:5], s[2:3]
	s_and_b32 s4, s20, 0x3ffffff
	s_mul_u64 s[6:7], s[2:3], 0x3d1
	s_mov_b32 s5, s19
	s_add_nc_u64 s[48:49], s[6:7], s[0:1]
	s_lshl_b64 s[0:1], s[2:3], 6
	s_lshr_b64 s[2:3], s[48:49], 26
	s_add_nc_u64 s[0:1], s[0:1], s[4:5]
	s_and_b32 s4, s34, 0x3ffffff
	s_add_nc_u64 s[88:89], s[0:1], s[2:3]
	s_mov_b64 s[6:7], s[46:47]
	s_lshr_b64 s[0:1], s[88:89], 26
	s_mov_b64 s[44:45], s[88:89]
	s_add_nc_u64 s[84:85], s[0:1], s[4:5]
	s_mov_b32 s0, s48
	s_mov_b64 s[34:35], s[84:85]
	v_writelane_b32 v17, s0, 20
	s_mov_b64 s[20:21], s[36:37]
	v_writelane_b32 v17, s1, 21
	s_mov_b32 s0, s26
	s_delay_alu instid0(SALU_CYCLE_1) | instskip(SKIP_2) | instid1(SALU_CYCLE_1)
	v_writelane_b32 v17, s0, 22
	v_writelane_b32 v17, s1, 23
	s_mov_b32 s0, s28
	v_writelane_b32 v17, s0, 24
	v_writelane_b32 v17, s1, 25
	s_mov_b32 s0, s36
	s_delay_alu instid0(SALU_CYCLE_1) | instskip(SKIP_2) | instid1(SALU_CYCLE_1)
	v_writelane_b32 v17, s0, 26
	v_writelane_b32 v17, s1, 27
	s_mov_b32 s0, s24
	v_writelane_b32 v17, s0, 28
	v_writelane_b32 v17, s1, 29
	s_mov_b64 s[0:1], s[14:15]
.LBB0_13:                               ; =>This Inner Loop Header: Depth=1
	s_lshl_b32 s24, s16, 1
	s_lshl_b32 s26, s6, 1
	s_and_b32 s2, s40, 0x3ffffff
	s_lshl_b32 s54, s34, 1
	s_mov_b32 s55, s19
	s_mov_b32 s17, s19
	s_and_b32 s10, s20, 0x3ffffff
	s_mov_b32 s11, s19
	s_mov_b32 s41, s19
	s_and_b32 s22, s42, 0x3ffffff
	s_mov_b32 s23, s19
	s_lshl_b32 s27, s42, 1
	s_and_b32 s66, s16, 0x3ffffff
	s_mov_b32 s67, s19
	s_and_b32 s60, s6, 0x3ffffff
	s_mov_b32 s61, s19
	s_lshl_b32 s28, s40, 1
	s_and_b32 s16, s24, 0x7fffffe
	s_and_b32 s40, s26, 0x7fffffe
	s_lshl_b32 s4, s48, 1
	s_lshl_b32 s25, s44, 1
	s_and_b32 s8, s12, 0x3ffffff
	s_mov_b32 s9, s19
	s_and_b64 s[62:63], s[48:49], 0x3ffffff
	s_mov_b32 s49, s19
	s_and_b32 s48, s27, 0x7fffffe
	s_mul_u64 s[98:99], s[60:61], s[54:55]
	s_mul_u64 s[100:101], s[66:67], s[66:67]
	;; [unrolled: 1-line block ×4, first 2 shown]
	s_and_b32 s44, s44, 0x3ffffff
	s_mov_b32 s45, s19
	s_lshl_b32 s20, s20, 1
	s_and_b32 s18, s4, 0x7fffffe
	s_and_b32 s6, s25, 0x7fffffe
	s_mul_u64 s[80:81], s[22:23], s[22:23]
	s_mul_u64 s[24:25], s[10:11], s[40:41]
	s_add_nc_u64 s[98:99], s[98:99], s[100:101]
	s_mul_u64 s[100:101], s[8:9], s[40:41]
	s_add_nc_u64 s[36:37], s[36:37], s[38:39]
	s_mul_u64 s[38:39], s[48:49], s[10:11]
	s_mov_b32 s3, s19
	s_mov_b32 s69, s19
	s_mul_u64 s[86:87], s[44:45], s[44:45]
	s_mul_u64 s[90:91], s[10:11], s[10:11]
	s_and_b32 s68, s20, 0x7fffffe
	s_add_nc_u64 s[24:25], s[24:25], s[80:81]
	s_mul_u64 s[80:81], s[8:9], s[48:49]
	s_add_nc_u64 s[38:39], s[100:101], s[38:39]
	s_mul_u64 s[100:101], s[18:19], s[34:35]
	s_mov_b32 s7, s19
	s_add_nc_u64 s[90:91], s[80:81], s[90:91]
	s_mul_u64 s[80:81], s[2:3], s[48:49]
	s_add_nc_u64 s[86:87], s[100:101], s[86:87]
	s_mul_u64 s[100:101], s[68:69], s[8:9]
	s_mul_u64 s[70:71], s[34:35], s[34:35]
	s_lshl_b32 s12, s12, 1
	s_add_nc_u64 s[100:101], s[80:81], s[100:101]
	s_mul_u64 s[80:81], s[66:67], s[18:19]
	s_mul_u64 s[34:35], s[6:7], s[34:35]
	s_and_b64 s[0:1], s[0:1], 0x3fffff
	s_mov_b32 s77, s19
	s_mul_u64 s[94:95], s[8:9], s[8:9]
	s_and_b32 s76, s12, 0x7fffffe
	s_add_nc_u64 s[80:81], s[80:81], s[34:35]
	s_mul_u64 s[34:35], s[2:3], s[68:69]
	s_mul_u64 s[96:97], s[54:55], s[66:67]
	;; [unrolled: 1-line block ×4, first 2 shown]
	s_add_nc_u64 s[94:95], s[34:35], s[94:95]
	s_mul_u64 s[34:35], s[76:77], s[2:3]
	s_mul_u64 s[82:83], s[8:9], s[54:55]
	s_add_nc_u64 s[70:71], s[66:67], s[70:71]
	s_add_nc_u64 s[66:67], s[68:69], s[34:35]
	s_mul_u64 s[34:35], s[60:61], s[6:7]
	s_mul_u64 s[102:103], s[2:3], s[2:3]
	;; [unrolled: 1-line block ×3, first 2 shown]
	s_add_nc_u64 s[76:77], s[34:35], s[96:97]
	s_mul_u64 s[96:97], s[22:23], s[6:7]
	s_add_nc_u64 s[36:37], s[36:37], s[82:83]
	s_mul_u64 s[82:83], s[8:9], s[16:17]
	s_mul_u64 vcc, s[22:23], s[54:55]
	s_and_b32 s78, s28, 0x7fffffe
	s_mul_u64 s[28:29], s[60:61], s[60:61]
	s_add_nc_u64 s[34:35], s[68:69], s[102:103]
	s_mul_u64 s[68:69], s[16:17], s[60:61]
	s_add_nc_u64 s[96:97], s[98:99], s[96:97]
	;; [unrolled: 2-line block ×3, first 2 shown]
	s_mul_u64 s[82:83], s[2:3], s[16:17]
	s_mul_u64 s[26:27], s[10:11], s[54:55]
	s_add_nc_u64 s[68:69], vcc, s[68:69]
	s_mul_u64 s[102:103], s[2:3], s[6:7]
	s_add_nc_u64 s[28:29], s[98:99], s[28:29]
	s_add_nc_u64 s[38:39], s[38:39], s[82:83]
	s_mul_u64 s[82:83], s[10:11], s[18:19]
	s_mul_u64 s[10:11], s[10:11], s[6:7]
	s_mov_b32 s79, s19
	s_mul_u64 s[72:73], s[2:3], s[54:55]
	s_mul_u64 s[92:93], s[0:1], s[18:19]
	;; [unrolled: 1-line block ×5, first 2 shown]
	s_add_nc_u64 s[10:11], s[68:69], s[10:11]
	s_add_nc_u64 s[26:27], s[28:29], s[26:27]
	;; [unrolled: 1-line block ×3, first 2 shown]
	s_mul_u64 s[74:75], s[0:1], s[54:55]
	s_mul_u64 s[54:55], s[0:1], s[0:1]
	;; [unrolled: 1-line block ×8, first 2 shown]
	s_add_nc_u64 s[24:25], s[24:25], s[72:73]
	s_add_nc_u64 s[8:9], s[10:11], s[8:9]
	;; [unrolled: 1-line block ×6, first 2 shown]
	s_lshr_b64 s[6:7], s[10:11], 26
	s_mov_b32 s13, s19
	s_add_nc_u64 s[6:7], s[24:25], s[6:7]
	s_add_nc_u64 s[36:37], s[38:39], s[74:75]
	s_and_b32 s12, s6, 0x3ffffff
	s_lshr_b64 s[6:7], s[6:7], 26
	s_mul_u64 s[62:63], s[62:63], s[62:63]
	s_add_nc_u64 s[40:41], s[90:91], s[40:41]
	s_mul_u64 s[24:25], s[12:13], 0x3d10
	s_add_nc_u64 s[6:7], s[36:37], s[6:7]
	;; [unrolled: 2-line block ×3, first 2 shown]
	s_lshl_b64 s[12:13], s[12:13], 10
	s_add_nc_u64 s[24:25], s[24:25], s[62:63]
	s_and_b32 s42, s6, 0x3ffffff
	s_lshr_b64 s[6:7], s[6:7], 26
	s_mov_b32 s43, s19
	s_add_nc_u64 s[12:13], s[12:13], s[44:45]
	s_lshr_b64 s[26:27], s[24:25], 26
	s_add_nc_u64 s[6:7], s[16:17], s[6:7]
	s_mov_b32 s21, s19
	s_add_nc_u64 s[0:1], s[100:101], s[0:1]
	s_mul_u64 s[28:29], s[42:43], 0x3d10
	s_lshl_b64 s[36:37], s[42:43], 10
	s_add_nc_u64 s[12:13], s[12:13], s[26:27]
	s_and_b32 s20, s6, 0x3ffffff
	s_lshr_b64 s[6:7], s[6:7], 26
	s_add_nc_u64 s[16:17], s[86:87], s[36:37]
	s_add_nc_u64 s[26:27], s[12:13], s[28:29]
	s_mul_u64 s[12:13], s[20:21], 0x3d10
	s_add_nc_u64 s[0:1], s[0:1], s[6:7]
	s_mov_b32 s51, s19
	s_add_nc_u64 s[48:49], s[94:95], s[48:49]
	s_lshl_b64 s[20:21], s[20:21], 10
	s_lshr_b64 s[6:7], s[26:27], 26
	s_add_nc_u64 s[12:13], s[16:17], s[12:13]
	s_and_b32 s50, s0, 0x3ffffff
	s_lshr_b64 s[0:1], s[0:1], 26
	s_mul_u64 s[60:61], s[60:61], s[18:19]
	s_add_nc_u64 s[16:17], s[80:81], s[20:21]
	s_add_nc_u64 s[28:29], s[12:13], s[6:7]
	s_mul_u64 s[6:7], s[50:51], 0x3d10
	s_add_nc_u64 s[0:1], s[48:49], s[0:1]
	s_mov_b32 s53, s19
	s_add_nc_u64 s[60:61], s[70:71], s[60:61]
	s_lshl_b64 s[12:13], s[50:51], 10
	s_lshr_b64 s[20:21], s[28:29], 26
	s_add_nc_u64 s[6:7], s[16:17], s[6:7]
	s_and_b32 s52, s0, 0x3ffffff
	s_lshr_b64 s[0:1], s[0:1], 26
	s_mul_u64 s[22:23], s[22:23], s[18:19]
	s_add_nc_u64 s[12:13], s[60:61], s[12:13]
	s_add_nc_u64 s[16:17], s[6:7], s[20:21]
	s_mul_u64 s[6:7], s[52:53], 0x3d10
	s_add_nc_u64 s[0:1], s[66:67], s[0:1]
	s_mov_b32 s65, s19
	s_add_nc_u64 s[22:23], s[76:77], s[22:23]
	s_lshl_b64 s[20:21], s[52:53], 10
	s_lshr_b64 s[36:37], s[16:17], 26
	s_add_nc_u64 s[6:7], s[12:13], s[6:7]
	s_and_b32 s64, s0, 0x3ffffff
	s_lshr_b64 s[0:1], s[0:1], 26
	s_add_nc_u64 s[12:13], s[22:23], s[20:21]
	s_add_nc_u64 s[6:7], s[6:7], s[36:37]
	s_mul_u64 s[20:21], s[64:65], 0x3d10
	s_add_nc_u64 s[0:1], s[34:35], s[0:1]
	s_mov_b32 s57, s19
	s_add_nc_u64 s[70:71], s[96:97], s[82:83]
	s_lshl_b64 s[22:23], s[64:65], 10
	s_lshr_b64 s[34:35], s[6:7], 26
	s_add_nc_u64 s[12:13], s[12:13], s[20:21]
	s_and_b32 s56, s0, 0x3ffffff
	s_lshr_b64 s[0:1], s[0:1], 26
	s_add_nc_u64 s[20:21], s[70:71], s[22:23]
	s_add_nc_u64 s[42:43], s[12:13], s[34:35]
	s_mul_u64 s[12:13], s[56:57], 0x3d10
	s_add_nc_u64 s[0:1], s[0:1], s[78:79]
	s_mov_b32 s59, s19
	s_lshl_b64 s[22:23], s[56:57], 10
	s_lshr_b64 s[34:35], s[42:43], 26
	s_add_nc_u64 s[12:13], s[20:21], s[12:13]
	s_and_b32 s58, s0, 0x3ffffff
	s_lshr_b64 s[0:1], s[0:1], 26
	s_add_nc_u64 s[8:9], s[8:9], s[22:23]
	s_add_nc_u64 s[20:21], s[12:13], s[34:35]
	s_mul_u64 s[12:13], s[58:59], 0x3d10
	s_add_nc_u64 s[0:1], s[0:1], s[54:55]
	s_lshl_b64 s[22:23], s[58:59], 10
	s_lshr_b64 s[34:35], s[20:21], 26
	s_add_nc_u64 s[8:9], s[8:9], s[12:13]
	s_and_b32 s18, s0, 0x3ffffff
	s_lshr_b64 s[36:37], s[0:1], 26
	s_add_nc_u64 s[0:1], s[2:3], s[22:23]
	s_add_nc_u64 s[12:13], s[8:9], s[34:35]
	s_mul_u64 s[2:3], s[18:19], 0x3d10
	s_and_b64 s[10:11], s[10:11], 0x3fffffe
	s_mul_u64 s[22:23], s[36:37], 0x3d10
	s_lshr_b64 s[34:35], s[12:13], 26
	s_add_nc_u64 s[0:1], s[0:1], s[2:3]
	s_lshl_b64 s[8:9], s[18:19], 10
	s_add_nc_u64 s[2:3], s[22:23], s[10:11]
	s_add_nc_u64 s[40:41], s[0:1], s[34:35]
	s_add_nc_u64 s[0:1], s[2:3], s[8:9]
	s_lshr_b64 s[2:3], s[40:41], 26
	s_and_b64 s[22:23], s[24:25], 0x3fffffd
	s_add_nc_u64 s[0:1], s[0:1], s[2:3]
	s_lshl_b64 s[2:3], s[36:37], 14
	s_lshr_b64 s[10:11], s[0:1], 22
	s_mov_b32 s5, s19
	s_add_nc_u64 s[2:3], s[10:11], s[2:3]
	s_and_b32 s4, s26, 0x3ffffff
	s_mul_u64 s[10:11], s[2:3], 0x3d1
	s_lshl_b64 s[2:3], s[2:3], 6
	s_add_nc_u64 s[48:49], s[10:11], s[22:23]
	s_add_nc_u64 s[2:3], s[2:3], s[4:5]
	s_lshr_b64 s[4:5], s[48:49], 26
	s_mov_b32 s9, s19
	s_add_nc_u64 s[44:45], s[2:3], s[4:5]
	s_add_co_i32 s33, s33, -1
	s_and_b32 s8, s28, 0x3ffffff
	s_lshr_b64 s[2:3], s[44:45], 26
	s_cmp_lg_u32 s33, 0
	s_add_nc_u64 s[34:35], s[2:3], s[8:9]
	s_cbranch_scc1 .LBB0_13
; %bb.14:
	v_readlane_b32 s2, v17, 26
	v_readlane_b32 s3, v17, 27
	s_mov_b32 s23, 0
	s_and_b64 s[18:19], s[14:15], 0x3fffff
	s_and_b32 s14, s16, 0x3ffffff
	s_and_b32 s24, s2, 0x3ffffff
	v_readlane_b32 s2, v17, 24
	v_readlane_b32 s3, v17, 25
	s_mov_b32 s15, s23
	s_mov_b32 s25, s23
	s_and_b32 s10, s6, 0x3ffffff
	s_and_b32 s36, s2, 0x3ffffff
	v_readlane_b32 s2, v17, 22
	s_mov_b32 s11, s23
	s_mov_b32 s37, s23
	s_and_b32 s22, s44, 0x3ffffff
	s_mul_u64 s[38:39], s[14:15], s[24:25]
	s_mul_u64 s[44:45], s[10:11], s[36:37]
	s_and_b32 s16, s42, 0x3ffffff
	s_mov_b32 s17, s23
	s_and_b32 s46, s46, 0x3ffffff
	s_mov_b32 s47, s23
	s_and_b32 s6, s20, 0x3ffffff
	s_and_b32 s90, s2, 0x3ffffff
	s_mul_u64 s[20:21], s[16:17], s[46:47]
	s_and_b32 s2, s0, 0x3fffff
	s_add_nc_u64 s[0:1], s[44:45], s[38:39]
	s_mov_b32 s7, s23
	s_mov_b32 s91, s23
	s_add_nc_u64 s[0:1], s[0:1], s[20:21]
	v_readlane_b32 s20, v17, 20
	s_mul_u64 s[42:43], s[6:7], s[90:91]
	s_and_b32 s12, s12, 0x3ffffff
	s_mov_b32 s13, s23
	s_and_b32 s26, s40, 0x3ffffff
	s_mov_b32 s27, s23
	;; [unrolled: 2-line block ×3, first 2 shown]
	s_mul_u64 s[40:41], s[12:13], s[84:85]
	s_add_nc_u64 s[0:1], s[0:1], s[42:43]
	v_readlane_b32 s3, v17, 23
	s_and_b64 s[4:5], s[48:49], 0x3ffffff
	s_mul_u64 s[48:49], s[26:27], s[64:65]
	s_mov_b32 s3, s23
	s_and_b32 s92, s20, 0x3ffffff
	s_mov_b32 s93, s23
	s_add_nc_u64 s[0:1], s[0:1], s[40:41]
	v_readlane_b32 s21, v17, 21
	v_readlane_b32 s38, v17, 28
	s_mul_u64 s[20:21], s[2:3], s[92:93]
	s_add_nc_u64 s[0:1], s[0:1], s[48:49]
	s_and_b32 s30, s30, 0x3ffffff
	s_mov_b32 s31, s23
	s_mul_u64 s[8:9], s[4:5], s[18:19]
	s_add_nc_u64 s[0:1], s[0:1], s[20:21]
	s_mul_u64 s[28:29], s[22:23], s[30:31]
	s_and_b32 s94, s38, 0x3ffffff
	s_mov_b32 s95, s23
	s_add_nc_u64 s[0:1], s[0:1], s[8:9]
	s_mul_u64 s[8:9], s[34:35], s[94:95]
	s_add_nc_u64 s[0:1], s[0:1], s[28:29]
	s_mul_u64 s[20:21], s[10:11], s[24:25]
	;; [unrolled: 2-line block ×3, first 2 shown]
	s_mul_u64 s[28:29], s[16:17], s[36:37]
	s_add_nc_u64 s[8:9], s[20:21], s[8:9]
	s_mul_u64 s[20:21], s[6:7], s[46:47]
	s_add_nc_u64 s[8:9], s[8:9], s[28:29]
	;; [unrolled: 2-line block ×3, first 2 shown]
	s_mul_u64 s[40:41], s[14:15], s[30:31]
	s_mul_u64 s[42:43], s[10:11], s[94:95]
	;; [unrolled: 1-line block ×3, first 2 shown]
	s_add_nc_u64 s[8:9], s[8:9], s[28:29]
	s_mul_u64 s[44:45], s[16:17], s[24:25]
	s_add_nc_u64 s[40:41], s[42:43], s[40:41]
	s_mul_u64 s[28:29], s[2:3], s[64:65]
	;; [unrolled: 2-line block ×7, first 2 shown]
	s_add_nc_u64 s[40:41], s[40:41], s[44:45]
	s_lshr_b64 s[20:21], s[0:1], 26
	s_add_nc_u64 s[8:9], s[8:9], s[28:29]
	s_mul_u64 s[44:45], s[2:3], s[84:85]
	s_add_nc_u64 s[40:41], s[40:41], s[42:43]
	s_add_nc_u64 s[20:21], s[8:9], s[20:21]
	s_mul_u64 s[42:43], s[34:35], s[18:19]
	s_add_nc_u64 s[40:41], s[40:41], s[44:45]
	s_and_b32 s28, s20, 0x3ffffff
	s_mov_b32 s29, s23
	s_lshr_b64 s[20:21], s[20:21], 26
	s_add_nc_u64 s[40:41], s[40:41], s[42:43]
	v_readlane_b32 s39, v17, 29
	s_mul_u64 s[8:9], s[4:5], s[92:93]
	s_mul_u64 s[38:39], s[28:29], 0x3d10
	;; [unrolled: 1-line block ×3, first 2 shown]
	s_add_nc_u64 s[20:21], s[40:41], s[20:21]
	s_mul_u64 s[40:41], s[22:23], s[92:93]
	s_add_nc_u64 s[8:9], s[38:39], s[8:9]
	s_lshl_b64 s[28:29], s[28:29], 10
	s_add_nc_u64 s[40:41], s[40:41], s[42:43]
	s_lshr_b64 s[38:39], s[8:9], 26
	s_and_b32 s44, s20, 0x3ffffff
	s_mov_b32 s45, s23
	s_add_nc_u64 s[28:29], s[40:41], s[28:29]
	s_mul_u64 s[40:41], s[44:45], 0x3d10
	s_add_nc_u64 s[28:29], s[28:29], s[38:39]
	s_lshr_b64 s[38:39], s[20:21], 26
	s_add_nc_u64 s[20:21], s[28:29], s[40:41]
	s_mul_u64 s[40:41], s[14:15], s[18:19]
	s_mul_u64 s[42:43], s[10:11], s[30:31]
	s_lshl_b64 s[28:29], s[44:45], 10
	s_mul_u64 s[44:45], s[16:17], s[94:95]
	s_add_nc_u64 s[40:41], s[42:43], s[40:41]
	s_mul_u64 s[42:43], s[6:7], s[24:25]
	s_add_nc_u64 s[40:41], s[40:41], s[44:45]
	;; [unrolled: 2-line block ×8, first 2 shown]
	s_and_b32 s48, s38, 0x3ffffff
	s_mov_b32 s49, s23
	s_add_nc_u64 s[40:41], s[42:43], s[40:41]
	s_mul_u64 s[42:43], s[48:49], 0x3d10
	s_add_nc_u64 s[28:29], s[40:41], s[28:29]
	s_lshr_b64 s[40:41], s[20:21], 26
	s_add_nc_u64 s[28:29], s[28:29], s[42:43]
	s_mul_u64 s[50:51], s[16:17], s[30:31]
	s_add_nc_u64 s[40:41], s[28:29], s[40:41]
	s_lshl_b64 s[28:29], s[48:49], 10
	s_mul_u64 s[48:49], s[10:11], s[18:19]
	s_mul_u64 s[52:53], s[6:7], s[94:95]
	s_add_nc_u64 s[48:49], s[50:51], s[48:49]
	s_mul_u64 s[50:51], s[12:13], s[24:25]
	s_add_nc_u64 s[48:49], s[48:49], s[52:53]
	;; [unrolled: 2-line block ×5, first 2 shown]
	s_mul_u64 s[50:51], s[14:15], s[92:93]
	s_mul_u64 s[44:45], s[22:23], s[84:85]
	s_add_nc_u64 s[42:43], s[42:43], s[50:51]
	s_lshr_b64 s[38:39], s[38:39], 26
	s_mul_u64 s[52:53], s[34:35], s[64:65]
	s_add_nc_u64 s[42:43], s[42:43], s[44:45]
	s_add_nc_u64 s[38:39], s[48:49], s[38:39]
	;; [unrolled: 1-line block ×3, first 2 shown]
	s_mul_u64 s[52:53], s[16:17], s[18:19]
	s_mul_u64 s[54:55], s[6:7], s[30:31]
	s_and_b32 s48, s38, 0x3ffffff
	s_mov_b32 s49, s23
	s_mul_u64 s[56:57], s[12:13], s[94:95]
	s_add_nc_u64 s[52:53], s[54:55], s[52:53]
	s_mul_u64 s[44:45], s[48:49], 0x3d10
	s_add_nc_u64 s[28:29], s[42:43], s[28:29]
	;; [unrolled: 2-line block ×3, first 2 shown]
	s_lshr_b64 s[42:43], s[40:41], 26
	s_add_nc_u64 s[28:29], s[28:29], s[44:45]
	s_mul_u64 s[50:51], s[14:15], s[64:65]
	s_add_nc_u64 s[52:53], s[52:53], s[54:55]
	s_mul_u64 s[54:55], s[10:11], s[92:93]
	s_add_nc_u64 s[66:67], s[28:29], s[42:43]
	s_mul_u64 s[42:43], s[4:5], s[46:47]
	s_mul_u64 s[56:57], s[2:3], s[36:37]
	s_add_nc_u64 s[50:51], s[54:55], s[50:51]
	s_lshr_b64 s[38:39], s[38:39], 26
	s_mul_u64 s[44:45], s[22:23], s[90:91]
	s_add_nc_u64 s[52:53], s[52:53], s[56:57]
	s_add_nc_u64 s[42:43], s[50:51], s[42:43]
	s_lshl_b64 s[28:29], s[48:49], 10
	s_mul_u64 s[48:49], s[34:35], s[84:85]
	s_add_nc_u64 s[38:39], s[52:53], s[38:39]
	s_add_nc_u64 s[42:43], s[42:43], s[44:45]
	s_and_b32 s50, s38, 0x3ffffff
	s_mov_b32 s51, s23
	s_add_nc_u64 s[42:43], s[42:43], s[48:49]
	s_mul_u64 s[44:45], s[50:51], 0x3d10
	s_add_nc_u64 s[28:29], s[42:43], s[28:29]
	s_lshr_b64 s[42:43], s[66:67], 26
	s_add_nc_u64 s[28:29], s[28:29], s[44:45]
	s_mul_u64 s[52:53], s[10:11], s[64:65]
	s_add_nc_u64 s[68:69], s[28:29], s[42:43]
	s_lshl_b64 s[28:29], s[50:51], 10
	s_mul_u64 s[50:51], s[14:15], s[84:85]
	s_mul_u64 s[56:57], s[6:7], s[18:19]
	;; [unrolled: 1-line block ×5, first 2 shown]
	s_add_nc_u64 s[56:57], s[58:59], s[56:57]
	s_add_nc_u64 s[50:51], s[52:53], s[50:51]
	s_mul_u64 s[42:43], s[4:5], s[36:37]
	s_mul_u64 s[58:59], s[2:3], s[24:25]
	s_add_nc_u64 s[56:57], s[56:57], s[60:61]
	s_add_nc_u64 s[50:51], s[50:51], s[54:55]
	s_lshr_b64 s[38:39], s[38:39], 26
	s_mul_u64 s[44:45], s[22:23], s[46:47]
	s_add_nc_u64 s[52:53], s[56:57], s[58:59]
	s_add_nc_u64 s[42:43], s[50:51], s[42:43]
	s_mul_u64 s[48:49], s[34:35], s[90:91]
	s_add_nc_u64 s[38:39], s[52:53], s[38:39]
	s_add_nc_u64 s[42:43], s[42:43], s[44:45]
	s_and_b32 s50, s38, 0x3ffffff
	s_mov_b32 s51, s23
	s_add_nc_u64 s[42:43], s[42:43], s[48:49]
	s_mul_u64 s[44:45], s[50:51], 0x3d10
	s_add_nc_u64 s[28:29], s[42:43], s[28:29]
	s_lshr_b64 s[42:43], s[68:69], 26
	s_add_nc_u64 s[28:29], s[28:29], s[44:45]
	s_mul_u64 s[52:53], s[10:11], s[84:85]
	s_add_nc_u64 s[70:71], s[28:29], s[42:43]
	s_lshl_b64 s[28:29], s[50:51], 10
	s_mul_u64 s[50:51], s[14:15], s[90:91]
	s_mul_u64 s[54:55], s[16:17], s[64:65]
	s_add_nc_u64 s[50:51], s[52:53], s[50:51]
	s_mul_u64 s[56:57], s[6:7], s[92:93]
	s_mul_u64 s[58:59], s[12:13], s[18:19]
	;; [unrolled: 1-line block ×3, first 2 shown]
	s_add_nc_u64 s[50:51], s[50:51], s[54:55]
	s_mul_u64 s[42:43], s[4:5], s[24:25]
	s_mul_u64 s[62:63], s[2:3], s[94:95]
	s_add_nc_u64 s[52:53], s[60:61], s[58:59]
	s_add_nc_u64 s[50:51], s[50:51], s[56:57]
	s_lshr_b64 s[38:39], s[38:39], 26
	s_mul_u64 s[44:45], s[22:23], s[36:37]
	s_add_nc_u64 s[52:53], s[52:53], s[62:63]
	s_add_nc_u64 s[42:43], s[50:51], s[42:43]
	s_mul_u64 s[48:49], s[34:35], s[46:47]
	s_add_nc_u64 s[38:39], s[52:53], s[38:39]
	s_add_nc_u64 s[42:43], s[42:43], s[44:45]
	s_and_b32 s50, s38, 0x3ffffff
	s_mov_b32 s51, s23
	s_add_nc_u64 s[42:43], s[42:43], s[48:49]
	s_mul_u64 s[44:45], s[50:51], 0x3d10
	s_add_nc_u64 s[28:29], s[42:43], s[28:29]
	s_lshr_b64 s[42:43], s[70:71], 26
	s_add_nc_u64 s[28:29], s[28:29], s[44:45]
	s_mul_u64 s[52:53], s[10:11], s[90:91]
	s_add_nc_u64 s[60:61], s[28:29], s[42:43]
	s_lshl_b64 s[28:29], s[50:51], 10
	s_mul_u64 s[50:51], s[14:15], s[46:47]
	s_mul_u64 s[54:55], s[16:17], s[84:85]
	s_add_nc_u64 s[50:51], s[52:53], s[50:51]
	s_mul_u64 s[48:49], s[34:35], s[36:37]
	s_add_nc_u64 s[50:51], s[50:51], s[54:55]
	s_mul_u64 s[54:55], s[2:3], s[30:31]
	v_writelane_b32 v17, s30, 28
	s_mul_u64 s[56:57], s[6:7], s[64:65]
	s_mul_u64 s[58:59], s[12:13], s[92:93]
	s_add_nc_u64 s[50:51], s[50:51], s[56:57]
	s_mul_u64 s[42:43], s[4:5], s[94:95]
	v_writelane_b32 v17, s31, 29
	s_mul_u64 s[52:53], s[26:27], s[18:19]
	s_add_nc_u64 s[50:51], s[50:51], s[58:59]
	s_lshr_b64 s[38:39], s[38:39], 26
	s_mul_u64 s[44:45], s[22:23], s[24:25]
	v_writelane_b32 v17, s36, 26
	s_mul_u64 s[14:15], s[14:15], s[36:37]
	s_add_nc_u64 s[52:53], s[54:55], s[52:53]
	s_add_nc_u64 s[42:43], s[50:51], s[42:43]
	s_mul_u64 s[16:17], s[16:17], s[90:91]
	v_writelane_b32 v17, s37, 27
	s_add_nc_u64 s[38:39], s[52:53], s[38:39]
	s_add_nc_u64 s[42:43], s[42:43], s[44:45]
	s_and_b32 s50, s38, 0x3ffffff
	s_mov_b32 s51, s23
	v_writelane_b32 v17, s46, 20
	s_mul_u64 s[10:11], s[10:11], s[46:47]
	s_add_nc_u64 s[42:43], s[42:43], s[48:49]
	s_add_nc_u64 s[10:11], s[10:11], s[14:15]
	s_mul_u64 s[44:45], s[50:51], 0x3d10
	v_writelane_b32 v17, s47, 21
	s_add_nc_u64 s[10:11], s[10:11], s[16:17]
	s_add_nc_u64 s[28:29], s[42:43], s[28:29]
	s_lshr_b64 s[42:43], s[60:61], 26
	s_add_nc_u64 s[28:29], s[28:29], s[44:45]
	v_writelane_b32 v17, s84, 22
	s_mul_u64 s[6:7], s[6:7], s[84:85]
	s_mul_u64 s[4:5], s[4:5], s[30:31]
	s_add_nc_u64 s[6:7], s[10:11], s[6:7]
	s_mul_u64 s[10:11], s[26:27], s[92:93]
	v_writelane_b32 v17, s85, 23
	s_lshr_b64 s[38:39], s[38:39], 26
	s_add_nc_u64 s[56:57], s[28:29], s[42:43]
	s_mul_u64 s[42:43], s[22:23], s[94:95]
	v_writelane_b32 v16, s18, 0
	v_writelane_b32 v17, s64, 30
	s_mul_u64 s[12:13], s[12:13], s[64:65]
	s_mul_u64 s[2:3], s[2:3], s[18:19]
	s_add_nc_u64 s[6:7], s[6:7], s[12:13]
	s_add_nc_u64 s[2:3], s[38:39], s[2:3]
	v_writelane_b32 v17, s65, 31
	s_add_nc_u64 s[6:7], s[6:7], s[10:11]
	s_lshl_b64 s[28:29], s[50:51], 10
	s_add_nc_u64 s[4:5], s[6:7], s[4:5]
	s_and_b32 s22, s2, 0x3ffffff
	v_writelane_b32 v17, s24, 24
	s_mul_u64 s[12:13], s[34:35], s[24:25]
	s_add_nc_u64 s[4:5], s[4:5], s[42:43]
	s_mul_u64 s[6:7], s[22:23], 0x3d10
	s_add_nc_u64 s[4:5], s[4:5], s[12:13]
	s_lshr_b64 s[10:11], s[56:57], 26
	s_add_nc_u64 s[4:5], s[4:5], s[28:29]
	s_lshr_b64 s[2:3], s[2:3], 26
	s_add_nc_u64 s[4:5], s[4:5], s[6:7]
	s_and_b32 s0, s0, 0x3ffffff
	s_mov_b32 s1, s23
	s_add_nc_u64 s[10:11], s[4:5], s[10:11]
	s_mul_u64 s[4:5], s[2:3], 0x3d10
	s_lshl_b64 s[6:7], s[22:23], 10
	s_add_nc_u64 s[0:1], s[4:5], s[0:1]
	s_lshr_b64 s[4:5], s[10:11], 26
	s_add_nc_u64 s[0:1], s[0:1], s[6:7]
	s_lshl_b64 s[2:3], s[2:3], 14
	s_add_nc_u64 s[50:51], s[0:1], s[4:5]
	s_and_b32 s0, s8, 0x3ffffff
	s_lshr_b64 s[6:7], s[50:51], 22
	s_mov_b32 s1, s23
	s_add_nc_u64 s[2:3], s[6:7], s[2:3]
	s_and_b32 s6, s20, 0x3ffffff
	s_mul_u64 s[8:9], s[2:3], 0x3d1
	s_mov_b32 s7, s23
	s_add_nc_u64 s[16:17], s[8:9], s[0:1]
	s_lshl_b64 s[0:1], s[2:3], 6
	s_lshr_b64 s[2:3], s[16:17], 26
	s_add_nc_u64 s[0:1], s[0:1], s[6:7]
	v_writelane_b32 v16, s19, 1
	s_add_nc_u64 s[2:3], s[0:1], s[2:3]
	s_and_b32 s6, s40, 0x3ffffff
	s_lshr_b64 s[0:1], s[2:3], 26
	s_movk_i32 s33, 0x58
	s_add_nc_u64 s[26:27], s[0:1], s[6:7]
	s_mov_b32 s0, s16
	s_mov_b64 s[6:7], s[2:3]
	v_writelane_b32 v16, s0, 2
	s_mov_b64 s[34:35], s[26:27]
	s_mov_b64 s[48:49], s[66:67]
	;; [unrolled: 1-line block ×4, first 2 shown]
	v_writelane_b32 v16, s1, 3
	s_mov_b32 s0, s2
	s_mov_b64 s[52:53], s[60:61]
	s_mov_b64 s[20:21], s[56:57]
	;; [unrolled: 1-line block ×3, first 2 shown]
	v_writelane_b32 v16, s0, 4
	s_mov_b64 s[46:47], s[50:51]
	v_writelane_b32 v17, s25, 25
	v_writelane_b32 v16, s1, 5
	s_mov_b32 s0, s66
	s_delay_alu instid0(SALU_CYCLE_1) | instskip(SKIP_2) | instid1(SALU_CYCLE_1)
	v_writelane_b32 v16, s0, 6
	v_writelane_b32 v16, s1, 7
	s_mov_b32 s0, s68
	v_writelane_b32 v16, s0, 8
	v_writelane_b32 v16, s1, 9
	s_mov_b32 s0, s70
	s_delay_alu instid0(SALU_CYCLE_1) | instskip(SKIP_2) | instid1(SALU_CYCLE_1)
	v_writelane_b32 v16, s0, 10
	v_writelane_b32 v16, s1, 11
	s_mov_b32 s0, s60
	;; [unrolled: 7-line block ×3, first 2 shown]
	v_writelane_b32 v16, s0, 16
	v_writelane_b32 v16, s1, 17
.LBB0_15:                               ; =>This Inner Loop Header: Depth=1
	s_lshl_b32 s4, s48, 1
	s_lshl_b32 s5, s44, 1
	s_and_b64 s[0:1], s[50:51], 0x3fffff
	s_lshl_b32 s15, s16, 1
	s_lshl_b32 s28, s6, 1
	s_lshl_b32 s66, s34, 1
	s_mov_b32 s67, s23
	s_mov_b32 s41, s23
	s_and_b32 s12, s52, 0x3ffffff
	s_mov_b32 s13, s23
	s_mov_b32 s45, s23
	s_and_b32 s42, s54, 0x3ffffff
	s_mov_b32 s43, s23
	s_and_b32 s50, s6, 0x3ffffff
	s_lshl_b32 s6, s54, 1
	s_and_b32 s70, s48, 0x3ffffff
	s_mov_b32 s71, s23
	s_lshl_b32 s14, s52, 1
	s_and_b32 s62, s44, 0x3ffffff
	s_mov_b32 s63, s23
	s_and_b32 s40, s4, 0x7fffffe
	s_and_b32 s44, s5, 0x7fffffe
	;; [unrolled: 1-line block ×3, first 2 shown]
	s_mov_b32 s11, s23
	s_mov_b32 s53, s23
	s_and_b32 s22, s15, 0x7fffffe
	s_and_b32 s52, s6, 0x7fffffe
	;; [unrolled: 1-line block ×3, first 2 shown]
	s_mul_u64 vcc, s[62:63], s[66:67]
	s_mul_u64 s[14:15], s[70:71], s[70:71]
	s_mul_u64 s[30:31], s[12:13], s[40:41]
	;; [unrolled: 1-line block ×3, first 2 shown]
	s_and_b32 s2, s8, 0x3ffffff
	s_mov_b32 s51, s23
	s_lshl_b32 s18, s8, 1
	s_and_b32 s8, s28, 0x7fffffe
	s_mul_u64 s[28:29], s[42:43], s[42:43]
	s_mul_u64 s[36:37], s[12:13], s[44:45]
	s_add_nc_u64 s[14:15], vcc, s[14:15]
	s_mul_u64 vcc, s[10:11], s[44:45]
	s_add_nc_u64 s[30:31], s[30:31], s[86:87]
	s_mul_u64 s[86:87], s[52:53], s[12:13]
	s_mov_b32 s3, s23
	s_mov_b32 s73, s23
	s_mul_u64 s[96:97], s[50:51], s[50:51]
	s_mul_u64 s[98:99], s[12:13], s[12:13]
	s_add_nc_u64 s[36:37], s[36:37], s[28:29]
	s_mul_u64 s[28:29], s[10:11], s[52:53]
	s_add_nc_u64 s[86:87], vcc, s[86:87]
	s_mul_u64 vcc, s[22:23], s[34:35]
	s_mov_b32 s9, s23
	s_add_nc_u64 s[98:99], s[28:29], s[98:99]
	s_mul_u64 s[28:29], s[2:3], s[52:53]
	s_add_nc_u64 s[96:97], vcc, s[96:97]
	s_mul_u64 vcc, s[72:73], s[10:11]
	s_and_b64 s[68:69], s[16:17], 0x3ffffff
	s_mul_u64 s[74:75], s[34:35], s[34:35]
	s_lshl_b32 s16, s20, 1
	s_add_nc_u64 vcc, s[28:29], vcc
	s_mul_u64 s[28:29], s[70:71], s[22:23]
	s_mul_u64 s[34:35], s[8:9], s[34:35]
	s_mov_b32 s81, s23
	s_mul_u64 s[100:101], s[10:11], s[10:11]
	s_and_b32 s80, s16, 0x7fffffe
	s_add_nc_u64 s[28:29], s[28:29], s[34:35]
	s_mul_u64 s[34:35], s[2:3], s[72:73]
	s_mul_u64 s[38:39], s[10:11], s[66:67]
	;; [unrolled: 1-line block ×5, first 2 shown]
	s_add_nc_u64 s[100:101], s[34:35], s[100:101]
	s_mul_u64 s[34:35], s[80:81], s[2:3]
	s_mul_u64 s[4:5], s[2:3], s[2:3]
	s_add_nc_u64 s[74:75], s[70:71], s[74:75]
	s_add_nc_u64 s[70:71], s[72:73], s[34:35]
	s_mul_u64 s[34:35], s[62:63], s[8:9]
	s_mul_u64 s[72:73], s[0:1], s[80:81]
	s_add_nc_u64 s[30:31], s[30:31], s[38:39]
	s_mul_u64 s[38:39], s[10:11], s[40:41]
	s_mul_u64 s[84:85], s[42:43], s[66:67]
	;; [unrolled: 1-line block ×3, first 2 shown]
	s_add_nc_u64 s[80:81], s[34:35], s[102:103]
	s_add_nc_u64 s[34:35], s[72:73], s[4:5]
	s_mul_u64 s[4:5], s[40:41], s[62:63]
	s_mul_u64 s[72:73], s[42:43], s[40:41]
	s_add_nc_u64 s[36:37], s[36:37], s[38:39]
	s_mul_u64 s[38:39], s[2:3], s[40:41]
	s_and_b32 s82, s18, 0x7fffffe
	s_mul_u64 s[18:19], s[12:13], s[66:67]
	s_add_nc_u64 s[4:5], s[84:85], s[4:5]
	s_mul_u64 s[84:85], s[2:3], s[8:9]
	s_add_nc_u64 s[24:25], s[72:73], s[24:25]
	s_add_nc_u64 s[38:39], s[86:87], s[38:39]
	s_mul_u64 s[86:87], s[12:13], s[22:23]
	s_mul_u64 s[12:13], s[12:13], s[8:9]
	s_mov_b32 s83, s23
	s_mul_u64 s[76:77], s[2:3], s[66:67]
	s_mul_u64 s[88:89], s[0:1], s[22:23]
	s_mul_u64 s[102:103], s[42:43], s[8:9]
	s_mul_u64 s[72:73], s[0:1], s[8:9]
	s_mul_u64 s[8:9], s[10:11], s[8:9]
	s_mul_u64 s[10:11], s[10:11], s[22:23]
	s_add_nc_u64 s[4:5], s[4:5], s[12:13]
	s_add_nc_u64 s[12:13], s[24:25], s[18:19]
	;; [unrolled: 1-line block ×3, first 2 shown]
	s_mul_u64 s[78:79], s[0:1], s[66:67]
	s_mul_u64 s[66:67], s[0:1], s[0:1]
	;; [unrolled: 1-line block ×8, first 2 shown]
	s_add_nc_u64 s[24:25], s[36:37], s[76:77]
	s_add_nc_u64 s[4:5], s[4:5], s[10:11]
	;; [unrolled: 1-line block ×6, first 2 shown]
	s_lshr_b64 s[8:9], s[10:11], 26
	s_mov_b32 s17, s23
	s_add_nc_u64 s[8:9], s[12:13], s[8:9]
	s_add_nc_u64 s[30:31], s[38:39], s[78:79]
	s_and_b32 s16, s8, 0x3ffffff
	s_lshr_b64 s[8:9], s[8:9], 26
	s_mul_u64 s[68:69], s[68:69], s[68:69]
	s_add_nc_u64 s[44:45], s[98:99], s[44:45]
	s_mul_u64 s[12:13], s[16:17], 0x3d10
	s_add_nc_u64 s[8:9], s[30:31], s[8:9]
	;; [unrolled: 2-line block ×3, first 2 shown]
	s_lshl_b64 s[16:17], s[16:17], 10
	s_add_nc_u64 s[12:13], s[12:13], s[68:69]
	s_and_b32 s20, s8, 0x3ffffff
	s_lshr_b64 s[8:9], s[8:9], 26
	s_mov_b32 s21, s23
	s_add_nc_u64 s[16:17], s[16:17], s[50:51]
	s_lshr_b64 s[18:19], s[12:13], 26
	s_add_nc_u64 s[8:9], s[36:37], s[8:9]
	s_mov_b32 s49, s23
	s_add_nc_u64 s[0:1], vcc, s[0:1]
	s_mul_u64 s[24:25], s[20:21], 0x3d10
	s_lshl_b64 s[20:21], s[20:21], 10
	s_add_nc_u64 s[16:17], s[16:17], s[18:19]
	s_and_b32 s48, s8, 0x3ffffff
	s_lshr_b64 s[8:9], s[8:9], 26
	s_add_nc_u64 s[18:19], s[96:97], s[20:21]
	s_add_nc_u64 s[16:17], s[16:17], s[24:25]
	s_mul_u64 s[20:21], s[48:49], 0x3d10
	s_add_nc_u64 s[0:1], s[0:1], s[8:9]
	s_mov_b32 s65, s23
	s_add_nc_u64 s[52:53], s[100:101], s[52:53]
	s_lshl_b64 s[24:25], s[48:49], 10
	s_lshr_b64 s[8:9], s[16:17], 26
	s_add_nc_u64 s[18:19], s[18:19], s[20:21]
	s_and_b32 s64, s0, 0x3ffffff
	s_lshr_b64 s[0:1], s[0:1], 26
	s_mul_u64 s[62:63], s[62:63], s[22:23]
	s_add_nc_u64 s[20:21], s[28:29], s[24:25]
	s_add_nc_u64 s[18:19], s[18:19], s[8:9]
	s_mul_u64 s[8:9], s[64:65], 0x3d10
	s_add_nc_u64 s[0:1], s[52:53], s[0:1]
	s_mov_b32 s55, s23
	s_add_nc_u64 s[62:63], s[74:75], s[62:63]
	s_lshl_b64 s[24:25], s[64:65], 10
	s_lshr_b64 s[28:29], s[18:19], 26
	s_add_nc_u64 s[8:9], s[20:21], s[8:9]
	s_and_b32 s54, s0, 0x3ffffff
	s_lshr_b64 s[0:1], s[0:1], 26
	s_mul_u64 s[42:43], s[42:43], s[22:23]
	s_add_nc_u64 s[20:21], s[62:63], s[24:25]
	s_add_nc_u64 s[48:49], s[8:9], s[28:29]
	s_mul_u64 s[8:9], s[54:55], 0x3d10
	s_add_nc_u64 s[0:1], s[70:71], s[0:1]
	s_mov_b32 s57, s23
	s_add_nc_u64 s[42:43], s[80:81], s[42:43]
	s_lshl_b64 s[24:25], s[54:55], 10
	s_lshr_b64 s[28:29], s[48:49], 26
	s_add_nc_u64 s[8:9], s[20:21], s[8:9]
	s_and_b32 s56, s0, 0x3ffffff
	s_lshr_b64 s[0:1], s[0:1], 26
	s_add_nc_u64 s[14:15], s[14:15], s[102:103]
	s_add_nc_u64 s[20:21], s[42:43], s[24:25]
	s_add_nc_u64 s[44:45], s[8:9], s[28:29]
	s_mul_u64 s[8:9], s[56:57], 0x3d10
	s_add_nc_u64 s[0:1], s[34:35], s[0:1]
	s_mov_b32 s59, s23
	s_add_nc_u64 s[14:15], s[14:15], s[86:87]
	s_lshl_b64 s[24:25], s[56:57], 10
	s_lshr_b64 s[28:29], s[44:45], 26
	s_add_nc_u64 s[8:9], s[20:21], s[8:9]
	s_and_b32 s58, s0, 0x3ffffff
	s_lshr_b64 s[0:1], s[0:1], 26
	s_add_nc_u64 s[14:15], s[14:15], s[24:25]
	s_add_nc_u64 s[54:55], s[8:9], s[28:29]
	s_mul_u64 s[8:9], s[58:59], 0x3d10
	s_add_nc_u64 s[0:1], s[0:1], s[82:83]
	s_mov_b32 s61, s23
	s_lshl_b64 s[20:21], s[58:59], 10
	s_lshr_b64 s[24:25], s[54:55], 26
	s_add_nc_u64 s[8:9], s[14:15], s[8:9]
	s_and_b32 s60, s0, 0x3ffffff
	s_lshr_b64 s[0:1], s[0:1], 26
	s_add_nc_u64 s[4:5], s[4:5], s[20:21]
	s_add_nc_u64 s[52:53], s[8:9], s[24:25]
	s_mul_u64 s[8:9], s[60:61], 0x3d10
	s_add_nc_u64 s[0:1], s[0:1], s[66:67]
	s_lshl_b64 s[14:15], s[60:61], 10
	s_lshr_b64 s[20:21], s[52:53], 26
	s_add_nc_u64 s[4:5], s[4:5], s[8:9]
	s_and_b32 s22, s0, 0x3ffffff
	s_lshr_b64 s[0:1], s[0:1], 26
	s_add_nc_u64 s[2:3], s[2:3], s[14:15]
	s_add_nc_u64 s[20:21], s[4:5], s[20:21]
	s_mul_u64 s[4:5], s[22:23], 0x3d10
	s_and_b64 s[10:11], s[10:11], 0x3fffffe
	s_mul_u64 s[8:9], s[0:1], 0x3d10
	s_lshr_b64 s[24:25], s[20:21], 26
	s_add_nc_u64 s[2:3], s[2:3], s[4:5]
	s_lshl_b64 s[14:15], s[22:23], 10
	s_add_nc_u64 s[4:5], s[8:9], s[10:11]
	s_add_nc_u64 s[8:9], s[2:3], s[24:25]
	;; [unrolled: 1-line block ×3, first 2 shown]
	s_lshr_b64 s[4:5], s[8:9], 26
	s_lshl_b64 s[0:1], s[0:1], 14
	s_add_nc_u64 s[50:51], s[2:3], s[4:5]
	s_and_b64 s[4:5], s[12:13], 0x3fffffd
	s_lshr_b64 s[2:3], s[50:51], 22
	s_mov_b32 s7, s23
	s_add_nc_u64 s[0:1], s[2:3], s[0:1]
	s_and_b32 s6, s16, 0x3ffffff
	s_mul_u64 s[2:3], s[0:1], 0x3d1
	s_lshl_b64 s[0:1], s[0:1], 6
	s_add_nc_u64 s[16:17], s[2:3], s[4:5]
	s_add_nc_u64 s[0:1], s[0:1], s[6:7]
	s_lshr_b64 s[2:3], s[16:17], 26
	s_mov_b32 s11, s23
	s_add_nc_u64 s[6:7], s[0:1], s[2:3]
	s_add_co_i32 s33, s33, -1
	s_and_b32 s10, s18, 0x3ffffff
	s_lshr_b64 s[0:1], s[6:7], 26
	s_cmp_lg_u32 s33, 0
	s_add_nc_u64 s[34:35], s[0:1], s[10:11]
	s_cbranch_scc1 .LBB0_15
; %bb.16:
	v_readlane_b32 s0, v16, 16
	v_readlane_b32 s1, v16, 17
	s_mov_b32 s23, 0
	s_and_b32 s22, s6, 0x3ffffff
	s_and_b32 s10, s48, 0x3ffffff
	;; [unrolled: 1-line block ×3, first 2 shown]
	v_readlane_b32 s0, v16, 12
	v_readlane_b32 s1, v16, 13
	s_mov_b32 s11, s23
	s_mov_b32 s101, s23
	s_and_b32 s6, s44, 0x3ffffff
	s_and_b32 s100, s0, 0x3ffffff
	v_readlane_b32 s0, v16, 10
	v_readlane_b32 s1, v16, 11
	s_mov_b32 s7, s23
	s_mov_b32 s97, s23
	s_mul_u64 s[18:19], s[10:11], s[100:101]
	s_and_b32 s96, s0, 0x3ffffff
	v_readlane_b32 s0, v16, 8
	v_readlane_b32 s1, v16, 9
	s_mul_u64 s[24:25], s[6:7], s[96:97]
	s_and_b32 s12, s54, 0x3ffffff
	s_mov_b32 s13, s23
	s_and_b32 s2, s0, 0x3ffffff
	v_readlane_b32 s0, v16, 6
	s_mov_b32 s3, s23
	v_readlane_b32 s1, v16, 7
	s_and_b32 s38, s52, 0x3ffffff
	s_mov_b32 s39, s23
	s_and_b32 s44, s0, 0x3ffffff
	v_readlane_b32 s0, v16, 4
	s_mov_b32 s45, s23
	s_mul_u64 s[30:31], s[12:13], s[2:3]
	s_add_nc_u64 s[18:19], s[24:25], s[18:19]
	v_readlane_b32 s24, v16, 2
	s_mul_u64 s[36:37], s[38:39], s[44:45]
	s_and_b32 s28, s20, 0x3ffffff
	s_mov_b32 s29, s23
	s_add_nc_u64 s[18:19], s[18:19], s[30:31]
	v_readlane_b32 s1, v16, 5
	s_and_b32 s8, s8, 0x3ffffff
	s_mov_b32 s9, s23
	s_and_b32 s0, s0, 0x3ffffff
	s_mov_b32 s1, s23
	s_mul_u64 s[20:21], s[28:29], s[26:27]
	s_add_nc_u64 s[18:19], s[18:19], s[36:37]
	s_mul_u64 s[48:49], s[8:9], s[0:1]
	s_and_b32 vcc_lo, s50, 0x3fffff
	s_mov_b32 vcc_hi, s23
	v_readlane_b32 s25, v16, 3
	s_and_b32 s102, s24, 0x3ffffff
	s_mov_b32 s103, s23
	s_add_nc_u64 s[18:19], s[18:19], s[20:21]
	v_readlane_b32 s24, v16, 14
	s_and_b64 s[40:41], s[16:17], 0x3ffffff
	s_and_b64 s[16:17], s[46:47], 0x3fffff
	s_mul_u64 s[20:21], vcc, s[102:103]
	s_add_nc_u64 s[18:19], s[18:19], s[48:49]
	s_mov_b32 s43, s23
	s_mul_u64 s[4:5], s[40:41], s[16:17]
	s_add_nc_u64 s[18:19], s[18:19], s[20:21]
	s_mul_u64 s[14:15], s[22:23], s[42:43]
	s_and_b32 s66, s24, 0x3ffffff
	s_mov_b32 s67, s23
	s_add_nc_u64 s[4:5], s[18:19], s[4:5]
	s_mul_u64 s[18:19], s[34:35], s[66:67]
	s_add_nc_u64 s[4:5], s[4:5], s[14:15]
	s_mul_u64 s[14:15], s[10:11], s[66:67]
	;; [unrolled: 2-line block ×3, first 2 shown]
	s_mul_u64 s[20:21], s[12:13], s[96:97]
	s_add_nc_u64 s[14:15], s[18:19], s[14:15]
	s_mul_u64 s[18:19], s[38:39], s[2:3]
	s_add_nc_u64 s[14:15], s[14:15], s[20:21]
	;; [unrolled: 2-line block ×4, first 2 shown]
	s_mul_u64 s[20:21], vcc, s[0:1]
	s_add_nc_u64 s[14:15], s[14:15], s[18:19]
	s_mul_u64 s[18:19], s[22:23], s[16:17]
	s_add_nc_u64 s[14:15], s[14:15], s[20:21]
	s_mul_u64 s[20:21], s[34:35], s[42:43]
	s_add_nc_u64 s[14:15], s[14:15], s[18:19]
	s_lshr_b64 s[18:19], s[4:5], 26
	s_add_nc_u64 s[14:15], s[14:15], s[20:21]
	s_and_b32 s64, s4, 0x3ffffff
	s_add_nc_u64 s[14:15], s[14:15], s[18:19]
	s_mov_b32 s5, s23
	s_and_b32 s4, s14, 0x3ffffff
	s_mul_u64 s[18:19], s[40:41], s[102:103]
	s_mul_u64 s[20:21], s[4:5], 0x3d10
	v_readlane_b32 s25, v16, 15
	s_add_nc_u64 s[48:49], s[20:21], s[18:19]
	s_mul_u64 s[20:21], s[10:11], s[42:43]
	s_mul_u64 s[24:25], s[6:7], s[66:67]
	;; [unrolled: 1-line block ×3, first 2 shown]
	s_add_nc_u64 s[20:21], s[24:25], s[20:21]
	s_mul_u64 s[24:25], s[38:39], s[96:97]
	s_add_nc_u64 s[20:21], s[20:21], s[30:31]
	s_mul_u64 s[30:31], s[28:29], s[2:3]
	;; [unrolled: 2-line block ×3, first 2 shown]
	s_add_nc_u64 s[20:21], s[20:21], s[30:31]
	s_mul_u64 s[30:31], vcc, s[26:27]
	s_add_nc_u64 s[20:21], s[20:21], s[24:25]
	s_mul_u64 s[24:25], s[34:35], s[16:17]
	s_add_nc_u64 s[20:21], s[20:21], s[30:31]
	s_lshr_b64 s[14:15], s[14:15], 26
	s_add_nc_u64 s[20:21], s[20:21], s[24:25]
	s_mul_u64 s[24:25], s[40:41], s[0:1]
	s_add_nc_u64 s[14:15], s[20:21], s[14:15]
	s_mul_u64 s[20:21], s[22:23], s[102:103]
	s_lshl_b64 s[4:5], s[4:5], 10
	s_add_nc_u64 s[20:21], s[20:21], s[24:25]
	s_lshr_b64 s[18:19], s[48:49], 26
	s_and_b32 s30, s14, 0x3ffffff
	s_mov_b32 s31, s23
	s_add_nc_u64 s[4:5], s[20:21], s[4:5]
	s_mul_u64 s[20:21], s[30:31], 0x3d10
	s_add_nc_u64 s[4:5], s[4:5], s[18:19]
	s_mul_u64 s[18:19], s[10:11], s[16:17]
	;; [unrolled: 2-line block ×3, first 2 shown]
	s_mul_u64 s[24:25], s[12:13], s[66:67]
	s_add_nc_u64 s[18:19], s[20:21], s[18:19]
	s_mul_u64 s[20:21], s[38:39], s[100:101]
	s_add_nc_u64 s[18:19], s[18:19], s[24:25]
	;; [unrolled: 2-line block ×4, first 2 shown]
	s_mul_u64 s[24:25], vcc, s[44:45]
	s_add_nc_u64 s[18:19], s[18:19], s[20:21]
	s_lshr_b64 s[14:15], s[14:15], 26
	s_mul_u64 s[20:21], s[40:41], s[26:27]
	s_add_nc_u64 s[18:19], s[18:19], s[24:25]
	s_mul_u64 s[24:25], s[22:23], s[0:1]
	s_add_nc_u64 s[14:15], s[18:19], s[14:15]
	;; [unrolled: 2-line block ×3, first 2 shown]
	s_lshl_b64 s[4:5], s[30:31], 10
	s_and_b32 s30, s14, 0x3ffffff
	s_add_nc_u64 s[18:19], s[20:21], s[18:19]
	s_mul_u64 s[20:21], s[30:31], 0x3d10
	s_add_nc_u64 s[4:5], s[18:19], s[4:5]
	s_lshr_b64 s[18:19], s[52:53], 26
	s_add_nc_u64 s[4:5], s[4:5], s[20:21]
	s_mul_u64 s[24:25], s[6:7], s[16:17]
	s_add_nc_u64 s[54:55], s[4:5], s[18:19]
	s_lshl_b64 s[4:5], s[30:31], 10
	s_mul_u64 s[30:31], s[12:13], s[42:43]
	s_mul_u64 s[36:37], s[38:39], s[66:67]
	s_add_nc_u64 s[24:25], s[30:31], s[24:25]
	s_mul_u64 s[30:31], s[28:29], s[100:101]
	s_add_nc_u64 s[24:25], s[24:25], s[36:37]
	;; [unrolled: 2-line block ×3, first 2 shown]
	s_mul_u64 s[30:31], vcc, s[2:3]
	s_add_nc_u64 s[24:25], s[24:25], s[36:37]
	s_mul_u64 s[18:19], s[40:41], s[44:45]
	s_add_nc_u64 s[24:25], s[24:25], s[30:31]
	s_mul_u64 s[30:31], s[10:11], s[102:103]
	s_lshr_b64 s[14:15], s[14:15], 26
	s_mul_u64 s[20:21], s[22:23], s[26:27]
	s_add_nc_u64 s[18:19], s[18:19], s[30:31]
	s_mul_u64 s[50:51], s[12:13], s[16:17]
	s_mul_u64 s[56:57], s[38:39], s[42:43]
	;; [unrolled: 1-line block ×3, first 2 shown]
	s_add_nc_u64 s[14:15], s[24:25], s[14:15]
	s_add_nc_u64 s[18:19], s[18:19], s[20:21]
	s_mul_u64 s[58:59], s[28:29], s[66:67]
	s_add_nc_u64 s[50:51], s[56:57], s[50:51]
	s_and_b32 s24, s14, 0x3ffffff
	s_mov_b32 s25, s23
	s_add_nc_u64 s[18:19], s[18:19], s[36:37]
	s_mul_u64 s[56:57], s[8:9], s[100:101]
	s_add_nc_u64 s[50:51], s[50:51], s[58:59]
	s_mul_u64 s[20:21], s[24:25], 0x3d10
	;; [unrolled: 2-line block ×4, first 2 shown]
	s_lshr_b64 s[18:19], s[54:55], 26
	s_add_nc_u64 s[4:5], s[4:5], s[20:21]
	s_mul_u64 s[20:21], s[40:41], s[2:3]
	s_mul_u64 s[58:59], vcc, s[96:97]
	s_add_nc_u64 s[36:37], s[56:57], s[36:37]
	s_lshr_b64 s[14:15], s[14:15], 26
	s_add_nc_u64 s[4:5], s[4:5], s[18:19]
	s_lshl_b64 s[18:19], s[24:25], 10
	s_mul_u64 s[24:25], s[22:23], s[44:45]
	s_add_nc_u64 s[50:51], s[50:51], s[58:59]
	s_add_nc_u64 s[20:21], s[36:37], s[20:21]
	s_mul_u64 s[30:31], s[34:35], s[26:27]
	s_add_nc_u64 s[14:15], s[50:51], s[14:15]
	s_add_nc_u64 s[20:21], s[20:21], s[24:25]
	s_and_b32 s36, s14, 0x3ffffff
	s_mov_b32 s37, s23
	s_add_nc_u64 s[20:21], s[20:21], s[30:31]
	s_mul_u64 s[24:25], s[36:37], 0x3d10
	s_add_nc_u64 s[18:19], s[20:21], s[18:19]
	s_mul_u64 s[50:51], s[10:11], s[26:27]
	s_mul_u64 s[56:57], s[6:7], s[0:1]
	;; [unrolled: 1-line block ×4, first 2 shown]
	s_lshr_b64 s[20:21], s[4:5], 26
	s_add_nc_u64 s[18:19], s[18:19], s[24:25]
	s_mul_u64 s[58:59], s[12:13], s[102:103]
	s_mul_u64 s[68:69], s[8:9], s[66:67]
	s_add_nc_u64 s[60:61], s[62:63], s[60:61]
	s_add_nc_u64 s[50:51], s[56:57], s[50:51]
	s_lshr_b64 s[24:25], s[14:15], 26
	s_add_nc_u64 s[14:15], s[18:19], s[20:21]
	s_mul_u64 s[20:21], s[40:41], s[96:97]
	s_mul_u64 s[62:63], vcc, s[100:101]
	s_add_nc_u64 s[60:61], s[60:61], s[68:69]
	s_add_nc_u64 s[50:51], s[50:51], s[58:59]
	s_mul_u64 s[30:31], s[22:23], s[2:3]
	s_add_nc_u64 s[56:57], s[60:61], s[62:63]
	s_add_nc_u64 s[20:21], s[50:51], s[20:21]
	s_lshl_b64 s[18:19], s[36:37], 10
	s_mul_u64 s[36:37], s[34:35], s[44:45]
	s_add_nc_u64 s[24:25], s[56:57], s[24:25]
	s_add_nc_u64 s[20:21], s[20:21], s[30:31]
	s_and_b32 s56, s24, 0x3ffffff
	s_mov_b32 s57, s23
	s_add_nc_u64 s[20:21], s[20:21], s[36:37]
	s_mul_u64 s[30:31], s[56:57], 0x3d10
	s_add_nc_u64 s[18:19], s[20:21], s[18:19]
	s_lshr_b64 s[20:21], s[14:15], 26
	s_add_nc_u64 s[18:19], s[18:19], s[30:31]
	s_mul_u64 s[58:59], s[6:7], s[26:27]
	s_add_nc_u64 s[50:51], s[18:19], s[20:21]
	s_lshl_b64 s[18:19], s[56:57], 10
	s_mul_u64 s[56:57], s[10:11], s[44:45]
	s_mul_u64 s[60:61], s[12:13], s[0:1]
	;; [unrolled: 1-line block ×4, first 2 shown]
	s_add_nc_u64 s[56:57], s[58:59], s[56:57]
	s_mul_u64 s[62:63], s[38:39], s[102:103]
	s_mul_u64 s[72:73], vcc, s[66:67]
	s_add_nc_u64 s[58:59], s[70:71], s[68:69]
	s_add_nc_u64 s[56:57], s[56:57], s[60:61]
	s_lshr_b64 s[24:25], s[24:25], 26
	s_mul_u64 s[20:21], s[40:41], s[100:101]
	s_add_nc_u64 s[58:59], s[58:59], s[72:73]
	s_add_nc_u64 s[56:57], s[56:57], s[62:63]
	s_mul_u64 s[30:31], s[22:23], s[96:97]
	s_add_nc_u64 s[24:25], s[58:59], s[24:25]
	s_add_nc_u64 s[20:21], s[56:57], s[20:21]
	s_mul_u64 s[58:59], s[10:11], s[2:3]
	s_mul_u64 s[60:61], s[6:7], s[44:45]
	;; [unrolled: 1-line block ×3, first 2 shown]
	s_add_nc_u64 s[20:21], s[20:21], s[30:31]
	s_mul_u64 s[62:63], s[12:13], s[26:27]
	s_add_nc_u64 s[58:59], s[60:61], s[58:59]
	s_and_b32 s56, s24, 0x3ffffff
	s_mov_b32 s57, s23
	s_add_nc_u64 s[20:21], s[20:21], s[36:37]
	s_mul_u64 s[68:69], s[38:39], s[0:1]
	s_add_nc_u64 s[58:59], s[58:59], s[62:63]
	s_mul_u64 s[30:31], s[56:57], 0x3d10
	;; [unrolled: 2-line block ×3, first 2 shown]
	s_add_nc_u64 s[58:59], s[58:59], s[68:69]
	s_add_nc_u64 s[18:19], s[18:19], s[30:31]
	s_mul_u64 s[30:31], s[40:41], s[66:67]
	s_mul_u64 s[60:61], s[8:9], s[16:17]
	s_mul_u64 s[62:63], vcc, s[42:43]
	s_add_nc_u64 s[58:59], s[58:59], s[70:71]
	s_lshr_b64 s[20:21], s[50:51], 26
	s_lshr_b64 s[24:25], s[24:25], 26
	s_mul_u64 s[36:37], s[22:23], s[100:101]
	s_add_nc_u64 s[60:61], s[62:63], s[60:61]
	s_add_nc_u64 s[30:31], s[58:59], s[30:31]
	s_mul_u64 s[10:11], s[10:11], s[96:97]
	s_mul_u64 s[2:3], s[6:7], s[2:3]
	s_add_nc_u64 s[20:21], s[18:19], s[20:21]
	s_lshl_b64 s[18:19], s[56:57], 10
	s_mul_u64 s[56:57], s[34:35], s[96:97]
	s_add_nc_u64 s[24:25], s[60:61], s[24:25]
	s_add_nc_u64 s[30:31], s[30:31], s[36:37]
	s_mul_u64 s[6:7], s[12:13], s[44:45]
	s_add_nc_u64 s[2:3], s[2:3], s[10:11]
	s_and_b32 s58, s24, 0x3ffffff
	s_mov_b32 s59, s23
	s_add_nc_u64 s[30:31], s[30:31], s[56:57]
	s_mul_u64 s[10:11], s[38:39], s[26:27]
	s_add_nc_u64 s[2:3], s[2:3], s[6:7]
	s_mul_u64 s[36:37], s[58:59], 0x3d10
	;; [unrolled: 2-line block ×3, first 2 shown]
	s_add_nc_u64 s[2:3], s[2:3], s[10:11]
	s_lshr_b64 s[30:31], s[20:21], 26
	s_add_nc_u64 s[18:19], s[18:19], s[36:37]
	s_mul_u64 s[6:7], s[8:9], s[102:103]
	s_add_nc_u64 s[0:1], s[2:3], s[0:1]
	s_add_nc_u64 s[98:99], s[18:19], s[30:31]
	s_mul_u64 s[30:31], s[40:41], s[42:43]
	s_add_nc_u64 s[0:1], s[0:1], s[6:7]
	s_lshr_b64 s[24:25], s[24:25], 26
	s_mul_u64 s[36:37], s[22:23], s[66:67]
	s_mul_u64 s[6:7], vcc, s[16:17]
	s_add_nc_u64 s[0:1], s[0:1], s[30:31]
	s_mul_u64 s[2:3], s[34:35], s[100:101]
	s_add_nc_u64 s[6:7], s[24:25], s[6:7]
	s_add_nc_u64 s[0:1], s[0:1], s[36:37]
	s_lshl_b64 s[18:19], s[58:59], 10
	s_and_b32 s22, s6, 0x3ffffff
	s_add_nc_u64 s[0:1], s[0:1], s[2:3]
	s_mul_u64 s[2:3], s[22:23], 0x3d10
	s_add_nc_u64 s[0:1], s[0:1], s[18:19]
	s_lshr_b64 s[8:9], s[98:99], 26
	s_add_nc_u64 s[0:1], s[0:1], s[2:3]
	s_lshr_b64 s[2:3], s[6:7], 26
	s_mov_b32 s65, s23
	s_add_nc_u64 s[12:13], s[0:1], s[8:9]
	s_mul_u64 s[0:1], s[2:3], 0x3d10
	s_lshl_b64 s[6:7], s[22:23], 10
	s_add_nc_u64 s[0:1], s[0:1], s[64:65]
	s_lshr_b64 s[8:9], s[12:13], 26
	s_add_nc_u64 s[0:1], s[0:1], s[6:7]
	s_lshl_b64 s[2:3], s[2:3], 14
	s_add_nc_u64 s[28:29], s[0:1], s[8:9]
	s_and_b32 s0, s48, 0x3ffffff
	s_lshr_b64 s[6:7], s[28:29], 22
	s_mov_b32 s1, s23
	s_add_nc_u64 s[2:3], s[6:7], s[2:3]
	s_and_b32 s6, s52, 0x3ffffff
	s_mul_u64 s[8:9], s[2:3], 0x3d1
	s_mov_b32 s7, s23
	s_add_nc_u64 s[38:39], s[8:9], s[0:1]
	s_lshl_b64 s[0:1], s[2:3], 6
	s_lshr_b64 s[2:3], s[38:39], 26
	s_add_nc_u64 s[0:1], s[0:1], s[6:7]
	s_and_b32 s6, s54, 0x3ffffff
	s_add_nc_u64 s[34:35], s[0:1], s[2:3]
	s_mov_b32 s33, 44
	s_lshr_b64 s[0:1], s[34:35], 26
	s_delay_alu instid0(SALU_CYCLE_1)
	s_add_nc_u64 s[26:27], s[0:1], s[6:7]
.LBB0_17:                               ; =>This Inner Loop Header: Depth=1
	s_and_b64 s[0:1], s[28:29], 0x3fffff
	s_lshl_b32 s28, s34, 1
	s_lshl_b32 s48, s26, 1
	s_mov_b32 s49, s23
	s_lshl_b32 s19, s14, 1
	s_lshl_b32 s24, s50, 1
	s_and_b32 s60, s4, 0x3ffffff
	s_mov_b32 s61, s23
	s_and_b32 s56, s14, 0x3ffffff
	s_mov_b32 s57, s23
	s_lshl_b32 s6, s38, 1
	s_and_b32 s8, s98, 0x3ffffff
	s_mov_b32 s9, s23
	s_lshl_b32 s18, s4, 1
	s_and_b32 s10, s20, 0x3ffffff
	s_mov_b32 s11, s23
	s_mov_b32 s29, s23
	s_and_b32 s16, s50, 0x3ffffff
	s_mov_b32 s17, s23
	s_mov_b32 s41, s23
	s_and_b32 s4, s28, 0x7fffffe
	s_and_b32 s28, s19, 0x7fffffe
	;; [unrolled: 1-line block ×3, first 2 shown]
	s_mul_u64 s[74:75], s[56:57], s[48:49]
	s_mul_u64 s[78:79], s[60:61], s[60:61]
	s_and_b64 s[58:59], s[38:39], 0x3ffffff
	s_and_b32 s38, s34, 0x3ffffff
	s_mov_b32 s39, s23
	s_and_b32 s22, s6, 0x7fffffe
	s_and_b32 s14, s18, 0x7fffffe
	s_mul_u64 s[18:19], s[16:17], s[16:17]
	s_mul_u64 s[100:101], s[10:11], s[28:29]
	s_add_nc_u64 s[102:103], s[74:75], s[78:79]
	s_mul_u64 s[74:75], s[8:9], s[28:29]
	s_mul_u64 s[78:79], s[40:41], s[10:11]
	s_mov_b32 s5, s23
	s_lshl_b32 s20, s20, 1
	s_mul_u64 s[24:25], s[38:39], s[38:39]
	s_add_nc_u64 s[18:19], s[100:101], s[18:19]
	s_add_nc_u64 s[100:101], s[74:75], s[78:79]
	s_mul_u64 s[74:75], s[22:23], s[26:27]
	s_and_b32 s2, s12, 0x3ffffff
	s_mov_b32 s3, s23
	s_mov_b32 s15, s23
	;; [unrolled: 1-line block ×3, first 2 shown]
	s_mul_u64 s[64:65], s[26:27], s[26:27]
	s_lshl_b32 s34, s98, 1
	s_and_b32 s62, s20, 0x7fffffe
	s_add_nc_u64 s[78:79], s[74:75], s[24:25]
	s_mul_u64 s[74:75], s[60:61], s[22:23]
	s_mul_u64 s[26:27], s[4:5], s[26:27]
	s_mov_b32 s71, s23
	s_mul_u64 s[36:37], s[8:9], s[8:9]
	s_and_b32 s70, s34, 0x7fffffe
	s_mul_u64 s[96:97], s[10:11], s[14:15]
	s_mul_u64 s[98:99], s[28:29], s[16:17]
	s_add_nc_u64 s[74:75], s[74:75], s[26:27]
	s_mul_u64 s[26:27], s[2:3], s[62:63]
	s_mul_u64 s[76:77], s[8:9], s[48:49]
	s_mul_u64 s[80:81], s[48:49], s[60:61]
	s_add_nc_u64 s[96:97], s[96:97], s[98:99]
	s_mul_u64 s[24:25], s[62:63], s[8:9]
	s_mul_u64 s[60:61], s[60:61], s[4:5]
	s_mul_u64 s[62:63], s[0:1], s[62:63]
	s_add_nc_u64 s[36:37], s[26:27], s[36:37]
	s_mul_u64 s[26:27], s[70:71], s[2:3]
	s_lshl_b32 s12, s12, 1
	s_mul_u64 s[30:31], s[10:11], s[10:11]
	s_mul_u64 s[82:83], s[2:3], s[2:3]
	;; [unrolled: 1-line block ×3, first 2 shown]
	s_add_nc_u64 s[64:65], s[60:61], s[64:65]
	s_add_nc_u64 s[60:61], s[62:63], s[26:27]
	s_mul_u64 s[26:27], s[56:57], s[4:5]
	s_mul_u64 s[62:63], s[0:1], s[70:71]
	s_add_nc_u64 s[76:77], s[96:97], s[76:77]
	s_mul_u64 s[96:97], s[8:9], s[14:15]
	s_mov_b32 s73, s23
	s_mul_u64 s[84:85], s[16:17], s[48:49]
	s_and_b32 s72, s12, 0x7fffffe
	s_mul_u64 s[88:89], s[56:57], s[56:57]
	s_add_nc_u64 s[30:31], s[98:99], s[30:31]
	s_mul_u64 s[98:99], s[2:3], s[40:41]
	s_add_nc_u64 s[70:71], s[26:27], s[80:81]
	s_add_nc_u64 s[26:27], s[62:63], s[82:83]
	s_mul_u64 s[62:63], s[14:15], s[56:57]
	s_mul_u64 s[82:83], s[16:17], s[14:15]
	s_add_nc_u64 s[18:19], s[18:19], s[96:97]
	s_mul_u64 s[96:97], s[2:3], s[14:15]
	s_mul_u64 s[66:67], s[2:3], s[48:49]
	;; [unrolled: 1-line block ×5, first 2 shown]
	s_add_nc_u64 s[24:25], s[98:99], s[24:25]
	s_mul_u64 s[98:99], s[0:1], s[22:23]
	s_add_nc_u64 s[62:63], s[84:85], s[62:63]
	s_mul_u64 s[84:85], s[2:3], s[4:5]
	;; [unrolled: 2-line block ×3, first 2 shown]
	s_mul_u64 s[14:15], s[0:1], s[14:15]
	s_mul_u64 s[40:41], s[0:1], s[40:41]
	;; [unrolled: 1-line block ×6, first 2 shown]
	s_add_nc_u64 s[96:97], s[100:101], s[96:97]
	s_mul_u64 s[100:101], s[10:11], s[22:23]
	s_mul_u64 s[10:11], s[10:11], s[4:5]
	;; [unrolled: 1-line block ×5, first 2 shown]
	s_add_nc_u64 s[28:29], s[30:31], s[28:29]
	s_add_nc_u64 s[0:1], s[24:25], s[0:1]
	;; [unrolled: 1-line block ×7, first 2 shown]
	s_mul_u64 s[2:3], s[2:3], s[22:23]
	s_add_nc_u64 s[18:19], s[18:19], s[66:67]
	s_add_nc_u64 s[8:9], s[10:11], s[8:9]
	;; [unrolled: 1-line block ×6, first 2 shown]
	s_lshr_b64 s[4:5], s[10:11], 26
	s_mov_b32 s13, s23
	s_add_nc_u64 s[4:5], s[18:19], s[4:5]
	s_add_nc_u64 s[62:63], s[96:97], s[68:69]
	s_and_b32 s12, s4, 0x3ffffff
	s_lshr_b64 s[4:5], s[4:5], 26
	s_mul_u64 s[58:59], s[58:59], s[58:59]
	s_mul_u64 s[18:19], s[12:13], 0x3d10
	s_add_nc_u64 s[4:5], s[62:63], s[4:5]
	s_mul_u64 s[38:39], s[22:23], s[38:39]
	s_add_nc_u64 s[14:15], s[28:29], s[14:15]
	s_lshl_b64 s[12:13], s[12:13], 10
	s_add_nc_u64 s[18:19], s[18:19], s[58:59]
	s_and_b32 s34, s4, 0x3ffffff
	s_lshr_b64 s[4:5], s[4:5], 26
	s_mov_b32 s35, s23
	s_add_nc_u64 s[12:13], s[12:13], s[38:39]
	s_lshr_b64 s[28:29], s[18:19], 26
	s_add_nc_u64 s[4:5], s[14:15], s[4:5]
	s_mov_b32 s21, s23
	s_mul_u64 s[38:39], s[34:35], 0x3d10
	s_lshl_b64 s[34:35], s[34:35], 10
	s_add_nc_u64 s[12:13], s[12:13], s[28:29]
	s_and_b32 s20, s4, 0x3ffffff
	s_lshr_b64 s[4:5], s[4:5], 26
	s_add_nc_u64 s[14:15], s[78:79], s[34:35]
	s_add_nc_u64 s[34:35], s[12:13], s[38:39]
	s_mul_u64 s[12:13], s[20:21], 0x3d10
	s_add_nc_u64 s[0:1], s[0:1], s[4:5]
	s_mov_b32 s43, s23
	s_lshl_b64 s[20:21], s[20:21], 10
	s_lshr_b64 s[4:5], s[34:35], 26
	s_add_nc_u64 s[12:13], s[14:15], s[12:13]
	s_and_b32 s42, s0, 0x3ffffff
	s_lshr_b64 s[0:1], s[0:1], 26
	s_add_nc_u64 s[14:15], s[74:75], s[20:21]
	s_add_nc_u64 s[40:41], s[12:13], s[4:5]
	s_mul_u64 s[4:5], s[42:43], 0x3d10
	s_add_nc_u64 s[0:1], s[24:25], s[0:1]
	s_mov_b32 s45, s23
	s_lshl_b64 s[12:13], s[42:43], 10
	s_lshr_b64 s[20:21], s[40:41], 26
	s_add_nc_u64 s[4:5], s[14:15], s[4:5]
	s_and_b32 s44, s0, 0x3ffffff
	s_lshr_b64 s[0:1], s[0:1], 26
	s_mul_u64 s[16:17], s[16:17], s[22:23]
	s_add_nc_u64 s[12:13], s[30:31], s[12:13]
	s_add_nc_u64 s[4:5], s[4:5], s[20:21]
	s_mul_u64 s[14:15], s[44:45], 0x3d10
	s_add_nc_u64 s[0:1], s[60:61], s[0:1]
	s_mov_b32 s51, s23
	s_add_nc_u64 s[16:17], s[70:71], s[16:17]
	s_lshl_b64 s[20:21], s[44:45], 10
	s_lshr_b64 s[24:25], s[4:5], 26
	s_add_nc_u64 s[12:13], s[12:13], s[14:15]
	s_and_b32 s50, s0, 0x3ffffff
	s_lshr_b64 s[0:1], s[0:1], 26
	s_add_nc_u64 s[80:81], s[102:103], s[80:81]
	s_add_nc_u64 s[16:17], s[16:17], s[20:21]
	;; [unrolled: 1-line block ×3, first 2 shown]
	s_mul_u64 s[12:13], s[50:51], 0x3d10
	s_add_nc_u64 s[0:1], s[26:27], s[0:1]
	s_mov_b32 s53, s23
	s_add_nc_u64 s[36:37], s[80:81], s[100:101]
	s_lshl_b64 s[20:21], s[50:51], 10
	s_lshr_b64 s[24:25], s[14:15], 26
	s_add_nc_u64 s[12:13], s[16:17], s[12:13]
	s_and_b32 s52, s0, 0x3ffffff
	s_lshr_b64 s[0:1], s[0:1], 26
	s_add_nc_u64 s[16:17], s[36:37], s[20:21]
	s_add_nc_u64 s[50:51], s[12:13], s[24:25]
	s_mul_u64 s[12:13], s[52:53], 0x3d10
	s_add_nc_u64 s[0:1], s[0:1], s[72:73]
	s_mov_b32 s55, s23
	s_lshl_b64 s[20:21], s[52:53], 10
	s_lshr_b64 s[24:25], s[50:51], 26
	s_add_nc_u64 s[12:13], s[16:17], s[12:13]
	s_and_b32 s54, s0, 0x3ffffff
	s_lshr_b64 s[0:1], s[0:1], 26
	s_add_nc_u64 s[8:9], s[8:9], s[20:21]
	s_add_nc_u64 s[20:21], s[12:13], s[24:25]
	s_mul_u64 s[12:13], s[54:55], 0x3d10
	s_add_nc_u64 s[0:1], s[0:1], s[48:49]
	s_lshl_b64 s[16:17], s[54:55], 10
	s_lshr_b64 s[24:25], s[20:21], 26
	s_add_nc_u64 s[8:9], s[8:9], s[12:13]
	s_and_b32 s22, s0, 0x3ffffff
	s_lshr_b64 s[0:1], s[0:1], 26
	s_add_nc_u64 s[2:3], s[2:3], s[16:17]
	s_add_nc_u64 s[98:99], s[8:9], s[24:25]
	s_mul_u64 s[8:9], s[22:23], 0x3d10
	s_and_b64 s[10:11], s[10:11], 0x3fffffe
	s_mul_u64 s[12:13], s[0:1], 0x3d10
	s_lshr_b64 s[24:25], s[98:99], 26
	s_add_nc_u64 s[2:3], s[2:3], s[8:9]
	s_lshl_b64 s[16:17], s[22:23], 10
	s_add_nc_u64 s[8:9], s[12:13], s[10:11]
	s_add_nc_u64 s[12:13], s[2:3], s[24:25]
	;; [unrolled: 1-line block ×3, first 2 shown]
	s_lshr_b64 s[8:9], s[12:13], 26
	s_lshl_b64 s[0:1], s[0:1], 14
	s_add_nc_u64 s[28:29], s[2:3], s[8:9]
	s_and_b64 s[8:9], s[18:19], 0x3fffffd
	s_lshr_b64 s[2:3], s[28:29], 22
	s_mov_b32 s7, s23
	s_add_nc_u64 s[0:1], s[2:3], s[0:1]
	s_and_b32 s6, s34, 0x3ffffff
	s_mul_u64 s[2:3], s[0:1], 0x3d1
	s_lshl_b64 s[0:1], s[0:1], 6
	s_add_nc_u64 s[38:39], s[2:3], s[8:9]
	s_add_nc_u64 s[0:1], s[0:1], s[6:7]
	s_lshr_b64 s[2:3], s[38:39], 26
	s_mov_b32 s11, s23
	s_add_nc_u64 s[34:35], s[0:1], s[2:3]
	s_add_co_i32 s33, s33, -1
	s_and_b32 s10, s40, 0x3ffffff
	s_lshr_b64 s[0:1], s[34:35], 26
	s_cmp_lg_u32 s33, 0
	s_add_nc_u64 s[26:27], s[0:1], s[10:11]
	s_cbranch_scc1 .LBB0_17
; %bb.18:
	v_readlane_b32 s64, v17, 24
	v_readlane_b32 s68, v17, 26
	;; [unrolled: 1-line block ×4, first 2 shown]
	s_mov_b32 s23, 0
	v_readlane_b32 s70, v17, 20
	v_readlane_b32 s71, v17, 21
	s_and_b32 s2, s4, 0x3ffffff
	s_mov_b32 s3, s23
	s_and_b32 s10, s14, 0x3ffffff
	s_mov_b32 s11, s23
	s_mul_u64 s[18:19], s[2:3], s[64:65]
	s_and_b32 s16, s50, 0x3ffffff
	s_mov_b32 s17, s23
	s_mul_u64 s[14:15], s[10:11], s[68:69]
	v_readlane_b32 s46, v17, 22
	v_readlane_b32 s47, v17, 23
	s_mul_u64 s[24:25], s[16:17], s[70:71]
	s_and_b32 s8, s20, 0x3ffffff
	s_mov_b32 s9, s23
	s_add_nc_u64 s[14:15], s[14:15], s[18:19]
	v_readlane_b32 s72, v17, 30
	v_readlane_b32 s73, v17, 31
	s_and_b32 s0, s98, 0x3ffffff
	s_mov_b32 s1, s23
	s_mul_u64 s[20:21], s[8:9], s[90:91]
	s_add_nc_u64 s[14:15], s[14:15], s[24:25]
	v_readlane_b32 s62, v16, 0
	s_mul_u64 s[30:31], s[0:1], s[46:47]
	s_and_b32 s12, s12, 0x3ffffff
	s_mov_b32 s13, s23
	s_add_nc_u64 s[14:15], s[14:15], s[20:21]
	v_readlane_b32 s63, v16, 1
	s_mul_u64 s[18:19], s[12:13], s[72:73]
	s_and_b64 s[28:29], s[28:29], 0x3fffff
	s_add_nc_u64 s[14:15], s[14:15], s[30:31]
	v_readlane_b32 s66, v17, 28
	v_readlane_b32 s67, v17, 29
	s_and_b64 s[6:7], s[38:39], 0x3ffffff
	s_mul_u64 s[20:21], s[28:29], s[92:93]
	s_add_nc_u64 s[14:15], s[14:15], s[18:19]
	s_mul_u64 s[4:5], s[6:7], s[62:63]
	s_and_b32 s22, s34, 0x3ffffff
	s_add_nc_u64 s[14:15], s[14:15], s[20:21]
	s_mul_u64 s[18:19], s[22:23], s[66:67]
	s_add_nc_u64 s[4:5], s[14:15], s[4:5]
	s_mul_u64 s[14:15], s[26:27], s[94:95]
	;; [unrolled: 2-line block ×4, first 2 shown]
	s_mul_u64 s[20:21], s[16:17], s[68:69]
	s_add_nc_u64 s[14:15], s[18:19], s[14:15]
	s_mul_u64 s[18:19], s[8:9], s[70:71]
	s_add_nc_u64 s[14:15], s[14:15], s[20:21]
	;; [unrolled: 2-line block ×7, first 2 shown]
	s_lshr_b64 s[18:19], s[4:5], 26
	s_add_nc_u64 s[14:15], s[14:15], s[20:21]
	s_and_b32 s40, s4, 0x3ffffff
	s_add_nc_u64 s[14:15], s[14:15], s[18:19]
	s_mov_b32 s5, s23
	s_and_b32 s4, s14, 0x3ffffff
	s_mul_u64 s[18:19], s[6:7], s[92:93]
	s_mul_u64 s[20:21], s[4:5], 0x3d10
	;; [unrolled: 1-line block ×3, first 2 shown]
	s_add_nc_u64 s[42:43], s[20:21], s[18:19]
	s_mul_u64 s[20:21], s[2:3], s[66:67]
	s_mul_u64 s[30:31], s[16:17], s[64:65]
	s_add_nc_u64 s[20:21], s[24:25], s[20:21]
	s_mul_u64 s[24:25], s[8:9], s[68:69]
	s_add_nc_u64 s[20:21], s[20:21], s[30:31]
	;; [unrolled: 2-line block ×6, first 2 shown]
	s_lshr_b64 s[14:15], s[14:15], 26
	s_add_nc_u64 s[20:21], s[20:21], s[24:25]
	s_mul_u64 s[24:25], s[6:7], s[72:73]
	s_add_nc_u64 s[14:15], s[20:21], s[14:15]
	s_mul_u64 s[20:21], s[22:23], s[92:93]
	s_lshl_b64 s[4:5], s[4:5], 10
	s_add_nc_u64 s[20:21], s[20:21], s[24:25]
	s_lshr_b64 s[18:19], s[42:43], 26
	s_and_b32 s30, s14, 0x3ffffff
	s_mov_b32 s31, s23
	s_add_nc_u64 s[4:5], s[20:21], s[4:5]
	s_mul_u64 s[20:21], s[30:31], 0x3d10
	s_add_nc_u64 s[4:5], s[4:5], s[18:19]
	s_mul_u64 s[18:19], s[2:3], s[62:63]
	s_mul_u64 s[24:25], s[10:11], s[66:67]
	s_add_nc_u64 s[20:21], s[4:5], s[20:21]
	s_lshl_b64 s[4:5], s[30:31], 10
	s_mul_u64 s[30:31], s[16:17], s[94:95]
	s_add_nc_u64 s[18:19], s[24:25], s[18:19]
	s_mul_u64 s[24:25], s[8:9], s[64:65]
	s_add_nc_u64 s[18:19], s[18:19], s[30:31]
	;; [unrolled: 2-line block ×5, first 2 shown]
	s_lshr_b64 s[14:15], s[14:15], 26
	s_mul_u64 s[24:25], s[6:7], s[46:47]
	s_add_nc_u64 s[18:19], s[18:19], s[30:31]
	s_mul_u64 s[30:31], s[22:23], s[72:73]
	s_add_nc_u64 s[14:15], s[18:19], s[14:15]
	;; [unrolled: 2-line block ×3, first 2 shown]
	s_and_b32 s34, s14, 0x3ffffff
	s_mov_b32 s35, s23
	s_add_nc_u64 s[18:19], s[24:25], s[18:19]
	s_mul_u64 s[24:25], s[34:35], 0x3d10
	s_add_nc_u64 s[4:5], s[18:19], s[4:5]
	s_lshr_b64 s[18:19], s[20:21], 26
	s_add_nc_u64 s[4:5], s[4:5], s[24:25]
	s_mul_u64 s[30:31], s[10:11], s[62:63]
	s_add_nc_u64 s[48:49], s[4:5], s[18:19]
	s_lshl_b64 s[4:5], s[34:35], 10
	s_mul_u64 s[34:35], s[16:17], s[66:67]
	s_mul_u64 s[36:37], s[8:9], s[94:95]
	s_add_nc_u64 s[30:31], s[34:35], s[30:31]
	s_mul_u64 s[34:35], s[0:1], s[64:65]
	s_add_nc_u64 s[30:31], s[30:31], s[36:37]
	;; [unrolled: 2-line block ×5, first 2 shown]
	s_mul_u64 s[34:35], s[2:3], s[92:93]
	s_lshr_b64 s[14:15], s[14:15], 26
	s_mul_u64 s[24:25], s[22:23], s[46:47]
	s_add_nc_u64 s[18:19], s[18:19], s[34:35]
	s_mul_u64 s[38:39], s[16:17], s[62:63]
	s_mul_u64 s[44:45], s[8:9], s[66:67]
	;; [unrolled: 1-line block ×3, first 2 shown]
	s_add_nc_u64 s[14:15], s[30:31], s[14:15]
	s_add_nc_u64 s[18:19], s[18:19], s[24:25]
	s_mul_u64 s[50:51], s[0:1], s[94:95]
	s_add_nc_u64 s[38:39], s[44:45], s[38:39]
	s_and_b32 s30, s14, 0x3ffffff
	s_mov_b32 s31, s23
	s_add_nc_u64 s[18:19], s[18:19], s[36:37]
	s_mul_u64 s[44:45], s[12:13], s[64:65]
	s_add_nc_u64 s[38:39], s[38:39], s[50:51]
	s_mul_u64 s[24:25], s[30:31], 0x3d10
	;; [unrolled: 2-line block ×4, first 2 shown]
	s_lshr_b64 s[18:19], s[48:49], 26
	s_add_nc_u64 s[4:5], s[4:5], s[24:25]
	s_mul_u64 s[24:25], s[6:7], s[70:71]
	s_mul_u64 s[50:51], s[28:29], s[68:69]
	s_add_nc_u64 s[36:37], s[44:45], s[36:37]
	s_lshr_b64 s[14:15], s[14:15], 26
	s_add_nc_u64 s[4:5], s[4:5], s[18:19]
	s_lshl_b64 s[18:19], s[30:31], 10
	s_mul_u64 s[30:31], s[22:23], s[90:91]
	s_add_nc_u64 s[38:39], s[38:39], s[50:51]
	s_add_nc_u64 s[24:25], s[36:37], s[24:25]
	s_mul_u64 s[34:35], s[26:27], s[46:47]
	s_add_nc_u64 s[14:15], s[38:39], s[14:15]
	s_add_nc_u64 s[24:25], s[24:25], s[30:31]
	s_and_b32 s36, s14, 0x3ffffff
	s_mov_b32 s37, s23
	s_add_nc_u64 s[24:25], s[24:25], s[34:35]
	s_mul_u64 s[30:31], s[36:37], 0x3d10
	s_add_nc_u64 s[18:19], s[24:25], s[18:19]
	s_mul_u64 s[38:39], s[2:3], s[46:47]
	s_mul_u64 s[44:45], s[10:11], s[72:73]
	;; [unrolled: 1-line block ×4, first 2 shown]
	s_lshr_b64 s[24:25], s[4:5], 26
	s_add_nc_u64 s[18:19], s[18:19], s[30:31]
	s_mul_u64 s[50:51], s[16:17], s[92:93]
	s_mul_u64 s[56:57], s[12:13], s[94:95]
	s_add_nc_u64 s[52:53], s[54:55], s[52:53]
	s_add_nc_u64 s[38:39], s[44:45], s[38:39]
	s_lshr_b64 s[30:31], s[14:15], 26
	s_add_nc_u64 s[14:15], s[18:19], s[24:25]
	s_mul_u64 s[24:25], s[6:7], s[68:69]
	s_mul_u64 s[54:55], s[28:29], s[64:65]
	s_add_nc_u64 s[52:53], s[52:53], s[56:57]
	s_add_nc_u64 s[38:39], s[38:39], s[50:51]
	s_mul_u64 s[34:35], s[22:23], s[70:71]
	s_add_nc_u64 s[44:45], s[52:53], s[54:55]
	s_add_nc_u64 s[24:25], s[38:39], s[24:25]
	s_lshl_b64 s[18:19], s[36:37], 10
	s_mul_u64 s[36:37], s[26:27], s[90:91]
	s_add_nc_u64 s[30:31], s[44:45], s[30:31]
	s_add_nc_u64 s[24:25], s[24:25], s[34:35]
	s_and_b32 s38, s30, 0x3ffffff
	s_mov_b32 s39, s23
	s_add_nc_u64 s[24:25], s[24:25], s[36:37]
	s_mul_u64 s[34:35], s[38:39], 0x3d10
	s_add_nc_u64 s[18:19], s[24:25], s[18:19]
	s_lshr_b64 s[24:25], s[14:15], 26
	s_add_nc_u64 s[18:19], s[18:19], s[34:35]
	s_mul_u64 s[50:51], s[10:11], s[46:47]
	s_add_nc_u64 s[44:45], s[18:19], s[24:25]
	s_lshl_b64 s[18:19], s[38:39], 10
	s_mul_u64 s[38:39], s[2:3], s[90:91]
	s_mul_u64 s[52:53], s[16:17], s[72:73]
	s_add_nc_u64 s[38:39], s[50:51], s[38:39]
	s_mul_u64 s[54:55], s[8:9], s[92:93]
	s_mul_u64 s[56:57], s[0:1], s[62:63]
	;; [unrolled: 1-line block ×3, first 2 shown]
	s_add_nc_u64 s[38:39], s[38:39], s[52:53]
	s_mul_u64 s[24:25], s[6:7], s[64:65]
	s_mul_u64 s[60:61], s[28:29], s[94:95]
	s_add_nc_u64 s[50:51], s[58:59], s[56:57]
	s_add_nc_u64 s[38:39], s[38:39], s[54:55]
	s_lshr_b64 s[30:31], s[30:31], 26
	s_mul_u64 s[34:35], s[22:23], s[68:69]
	s_add_nc_u64 s[50:51], s[50:51], s[60:61]
	s_add_nc_u64 s[24:25], s[38:39], s[24:25]
	s_mul_u64 s[36:37], s[26:27], s[70:71]
	s_add_nc_u64 s[30:31], s[50:51], s[30:31]
	s_add_nc_u64 s[24:25], s[24:25], s[34:35]
	s_and_b32 s50, s30, 0x3ffffff
	s_mov_b32 s51, s23
	s_add_nc_u64 s[24:25], s[24:25], s[36:37]
	s_mul_u64 s[34:35], s[50:51], 0x3d10
	s_add_nc_u64 s[18:19], s[24:25], s[18:19]
	s_lshr_b64 s[24:25], s[44:45], 26
	s_add_nc_u64 s[18:19], s[18:19], s[34:35]
	s_mul_u64 s[52:53], s[10:11], s[90:91]
	s_add_nc_u64 s[38:39], s[18:19], s[24:25]
	s_lshl_b64 s[18:19], s[50:51], 10
	s_mul_u64 s[50:51], s[2:3], s[70:71]
	s_mul_u64 s[54:55], s[16:17], s[46:47]
	s_add_nc_u64 s[50:51], s[52:53], s[50:51]
	s_mul_u64 s[56:57], s[8:9], s[72:73]
	s_add_nc_u64 s[50:51], s[50:51], s[54:55]
	;; [unrolled: 2-line block ×3, first 2 shown]
	s_mul_u64 s[24:25], s[6:7], s[94:95]
	s_mul_u64 s[52:53], s[12:13], s[62:63]
	s_mul_u64 s[54:55], s[28:29], s[66:67]
	s_add_nc_u64 s[50:51], s[50:51], s[58:59]
	s_mul_u64 s[2:3], s[2:3], s[68:69]
	s_mul_u64 s[10:11], s[10:11], s[70:71]
	s_lshr_b64 s[30:31], s[30:31], 26
	s_mul_u64 s[34:35], s[22:23], s[64:65]
	s_add_nc_u64 s[52:53], s[54:55], s[52:53]
	s_add_nc_u64 s[24:25], s[50:51], s[24:25]
	s_mul_u64 s[16:17], s[16:17], s[90:91]
	s_add_nc_u64 s[2:3], s[10:11], s[2:3]
	s_mul_u64 s[36:37], s[26:27], s[68:69]
	s_add_nc_u64 s[30:31], s[52:53], s[30:31]
	s_add_nc_u64 s[24:25], s[24:25], s[34:35]
	s_mul_u64 s[8:9], s[8:9], s[46:47]
	s_add_nc_u64 s[2:3], s[2:3], s[16:17]
	s_and_b32 s50, s30, 0x3ffffff
	s_mov_b32 s51, s23
	s_add_nc_u64 s[24:25], s[24:25], s[36:37]
	s_mul_u64 s[0:1], s[0:1], s[72:73]
	s_add_nc_u64 s[2:3], s[2:3], s[8:9]
	s_mul_u64 s[34:35], s[50:51], 0x3d10
	;; [unrolled: 2-line block ×3, first 2 shown]
	s_add_nc_u64 s[0:1], s[2:3], s[0:1]
	s_lshr_b64 s[24:25], s[38:39], 26
	s_add_nc_u64 s[18:19], s[18:19], s[34:35]
	s_mul_u64 s[6:7], s[6:7], s[66:67]
	s_add_nc_u64 s[0:1], s[0:1], s[8:9]
	s_lshr_b64 s[30:31], s[30:31], 26
	s_add_nc_u64 s[34:35], s[18:19], s[24:25]
	s_mul_u64 s[24:25], s[22:23], s[94:95]
	s_mul_u64 s[8:9], s[28:29], s[62:63]
	s_add_nc_u64 s[0:1], s[0:1], s[6:7]
	s_mul_u64 s[2:3], s[26:27], s[64:65]
	s_add_nc_u64 s[6:7], s[30:31], s[8:9]
	s_add_nc_u64 s[0:1], s[0:1], s[24:25]
	s_lshl_b64 s[18:19], s[50:51], 10
	s_and_b32 s22, s6, 0x3ffffff
	s_add_nc_u64 s[0:1], s[0:1], s[2:3]
	s_mul_u64 s[2:3], s[22:23], 0x3d10
	s_add_nc_u64 s[0:1], s[0:1], s[18:19]
	s_lshr_b64 s[8:9], s[34:35], 26
	s_add_nc_u64 s[0:1], s[0:1], s[2:3]
	s_lshr_b64 s[2:3], s[6:7], 26
	s_mov_b32 s41, s23
	s_add_nc_u64 s[12:13], s[0:1], s[8:9]
	s_mul_u64 s[0:1], s[2:3], 0x3d10
	s_lshl_b64 s[6:7], s[22:23], 10
	s_add_nc_u64 s[0:1], s[0:1], s[40:41]
	s_lshr_b64 s[8:9], s[12:13], 26
	s_add_nc_u64 s[0:1], s[0:1], s[6:7]
	s_lshl_b64 s[2:3], s[2:3], 14
	s_add_nc_u64 s[26:27], s[0:1], s[8:9]
	s_and_b32 s0, s42, 0x3ffffff
	s_lshr_b64 s[6:7], s[26:27], 22
	s_mov_b32 s1, s23
	s_add_nc_u64 s[2:3], s[6:7], s[2:3]
	s_and_b32 s6, s20, 0x3ffffff
	s_mul_u64 s[8:9], s[2:3], 0x3d1
	s_mov_b32 s7, s23
	s_add_nc_u64 s[20:21], s[8:9], s[0:1]
	s_lshl_b64 s[0:1], s[2:3], 6
	s_lshr_b64 s[2:3], s[20:21], 26
	s_add_nc_u64 s[0:1], s[0:1], s[6:7]
	v_readlane_b32 s98, v18, 26
	s_add_nc_u64 s[18:19], s[0:1], s[2:3]
	v_readlane_b32 s99, v18, 27
	s_and_b32 s6, s48, 0x3ffffff
	s_lshr_b64 s[0:1], s[18:19], 26
	s_mov_b32 s33, 3
	s_add_nc_u64 s[24:25], s[0:1], s[6:7]
.LBB0_19:                               ; =>This Inner Loop Header: Depth=1
	s_lshl_b32 s30, s4, 1
	s_lshl_b32 s36, s14, 1
	s_and_b64 s[0:1], s[26:27], 0x3fffff
	s_lshl_b32 s6, s20, 1
	s_lshl_b32 s26, s18, 1
	;; [unrolled: 1-line block ×3, first 2 shown]
	s_mov_b32 s41, s23
	s_mov_b32 s15, s23
	s_and_b32 s10, s38, 0x3ffffff
	s_mov_b32 s11, s23
	s_mov_b32 s19, s23
	s_and_b32 s16, s44, 0x3ffffff
	s_mov_b32 s17, s23
	s_and_b64 s[50:51], s[20:21], 0x3ffffff
	s_and_b32 s28, s18, 0x3ffffff
	s_lshl_b32 s20, s44, 1
	s_and_b32 s52, s4, 0x3ffffff
	s_mov_b32 s53, s23
	s_and_b32 s44, s14, 0x3ffffff
	s_mov_b32 s45, s23
	s_and_b32 s14, s30, 0x7fffffe
	s_and_b32 s18, s36, 0x7fffffe
	;; [unrolled: 1-line block ×3, first 2 shown]
	s_mov_b32 s9, s23
	s_mov_b32 s31, s23
	s_and_b32 s30, s20, 0x7fffffe
	s_mul_u64 s[78:79], s[44:45], s[40:41]
	s_mul_u64 s[80:81], s[52:53], s[52:53]
	;; [unrolled: 1-line block ×4, first 2 shown]
	s_mov_b32 s29, s23
	s_lshl_b32 s38, s38, 1
	s_and_b32 s22, s6, 0x7fffffe
	s_mul_u64 s[66:67], s[16:17], s[16:17]
	s_mul_u64 s[94:95], s[10:11], s[18:19]
	s_add_nc_u64 s[78:79], s[78:79], s[80:81]
	s_mul_u64 s[80:81], s[8:9], s[18:19]
	s_add_nc_u64 s[90:91], s[90:91], s[92:93]
	s_mul_u64 s[92:93], s[30:31], s[10:11]
	s_and_b32 s2, s12, 0x3ffffff
	s_mov_b32 s3, s23
	s_mov_b32 s55, s23
	s_mul_u64 s[70:71], s[28:29], s[28:29]
	s_mul_u64 s[72:73], s[10:11], s[10:11]
	s_and_b32 s54, s38, 0x7fffffe
	s_add_nc_u64 s[94:95], s[94:95], s[66:67]
	s_mul_u64 s[66:67], s[8:9], s[30:31]
	s_add_nc_u64 s[80:81], s[80:81], s[92:93]
	s_mul_u64 s[92:93], s[22:23], s[24:25]
	s_mov_b32 s5, s23
	s_and_b32 s4, s26, 0x7fffffe
	s_add_nc_u64 s[72:73], s[66:67], s[72:73]
	s_mul_u64 s[66:67], s[2:3], s[30:31]
	s_add_nc_u64 s[70:71], s[92:93], s[70:71]
	s_mul_u64 s[92:93], s[54:55], s[8:9]
	s_mul_u64 s[56:57], s[24:25], s[24:25]
	s_lshl_b32 s34, s34, 1
	s_add_nc_u64 s[92:93], s[66:67], s[92:93]
	s_mul_u64 s[66:67], s[52:53], s[22:23]
	s_mul_u64 s[24:25], s[4:5], s[24:25]
	s_mov_b32 s63, s23
	s_mul_u64 s[74:75], s[8:9], s[8:9]
	s_and_b32 s62, s34, 0x7fffffe
	s_add_nc_u64 s[66:67], s[66:67], s[24:25]
	s_mul_u64 s[24:25], s[2:3], s[54:55]
	s_mul_u64 s[76:77], s[40:41], s[52:53]
	;; [unrolled: 1-line block ×4, first 2 shown]
	s_add_nc_u64 s[74:75], s[24:25], s[74:75]
	s_mul_u64 s[24:25], s[62:63], s[2:3]
	s_add_nc_u64 s[56:57], s[52:53], s[56:57]
	s_add_nc_u64 s[52:53], s[54:55], s[24:25]
	s_mul_u64 s[24:25], s[44:45], s[4:5]
	s_mul_u64 s[68:69], s[8:9], s[40:41]
	;; [unrolled: 1-line block ×4, first 2 shown]
	s_add_nc_u64 s[62:63], s[24:25], s[76:77]
	s_mul_u64 s[76:77], s[16:17], s[4:5]
	s_lshl_b32 s12, s12, 1
	s_mul_u64 s[84:85], s[16:17], s[40:41]
	s_mul_u64 s[88:89], s[44:45], s[44:45]
	s_add_nc_u64 s[24:25], s[54:55], s[82:83]
	s_mul_u64 s[54:55], s[14:15], s[44:45]
	s_add_nc_u64 s[76:77], s[78:79], s[76:77]
	s_mul_u64 s[78:79], s[16:17], s[14:15]
	s_add_nc_u64 s[68:69], s[90:91], s[68:69]
	s_mul_u64 s[90:91], s[2:3], s[14:15]
	s_mov_b32 s65, s23
	s_and_b32 s64, s12, 0x7fffffe
	s_mul_u64 s[86:87], s[10:11], s[40:41]
	s_add_nc_u64 s[54:55], s[84:85], s[54:55]
	s_mul_u64 s[82:83], s[2:3], s[4:5]
	s_add_nc_u64 s[78:79], s[78:79], s[88:89]
	s_mul_u64 s[88:89], s[8:9], s[14:15]
	s_mul_u64 s[16:17], s[16:17], s[22:23]
	s_add_nc_u64 s[80:81], s[80:81], s[90:91]
	s_mul_u64 s[90:91], s[10:11], s[22:23]
	s_mul_u64 s[10:11], s[10:11], s[4:5]
	;; [unrolled: 1-line block ×7, first 2 shown]
	s_add_nc_u64 s[88:89], s[94:95], s[88:89]
	s_mul_u64 s[14:15], s[0:1], s[14:15]
	s_mul_u64 s[30:31], s[0:1], s[30:31]
	s_mul_u64 s[64:65], s[64:65], s[0:1]
	s_mul_u64 s[0:1], s[0:1], s[18:19]
	s_mul_u64 s[18:19], s[2:3], s[18:19]
	s_mul_u64 s[4:5], s[8:9], s[4:5]
	s_mul_u64 s[8:9], s[8:9], s[22:23]
	s_add_nc_u64 s[16:17], s[62:63], s[16:17]
	s_add_nc_u64 s[10:11], s[54:55], s[10:11]
	;; [unrolled: 1-line block ×4, first 2 shown]
	s_mul_u64 s[2:3], s[2:3], s[22:23]
	s_add_nc_u64 s[18:19], s[72:73], s[18:19]
	s_add_nc_u64 s[58:59], s[88:89], s[58:59]
	;; [unrolled: 1-line block ×8, first 2 shown]
	s_lshr_b64 s[4:5], s[10:11], 26
	s_mov_b32 s13, s23
	s_add_nc_u64 s[4:5], s[18:19], s[4:5]
	s_add_nc_u64 s[60:61], s[80:81], s[60:61]
	s_and_b32 s12, s4, 0x3ffffff
	s_lshr_b64 s[4:5], s[4:5], 26
	s_mul_u64 s[50:51], s[50:51], s[50:51]
	s_mul_u64 s[18:19], s[12:13], 0x3d10
	s_add_nc_u64 s[4:5], s[60:61], s[4:5]
	s_mul_u64 s[28:29], s[22:23], s[28:29]
	s_lshl_b64 s[12:13], s[12:13], 10
	s_add_nc_u64 s[18:19], s[18:19], s[50:51]
	s_and_b32 s26, s4, 0x3ffffff
	s_lshr_b64 s[4:5], s[4:5], 26
	s_mov_b32 s27, s23
	s_add_nc_u64 s[12:13], s[12:13], s[28:29]
	s_lshr_b64 s[28:29], s[18:19], 26
	s_add_nc_u64 s[4:5], s[14:15], s[4:5]
	s_mov_b32 s21, s23
	s_add_nc_u64 s[0:1], s[92:93], s[0:1]
	s_mul_u64 s[50:51], s[26:27], 0x3d10
	s_lshl_b64 s[26:27], s[26:27], 10
	s_add_nc_u64 s[12:13], s[12:13], s[28:29]
	s_and_b32 s20, s4, 0x3ffffff
	s_lshr_b64 s[4:5], s[4:5], 26
	s_add_nc_u64 s[14:15], s[70:71], s[26:27]
	s_add_nc_u64 s[28:29], s[12:13], s[50:51]
	s_mul_u64 s[12:13], s[20:21], 0x3d10
	s_add_nc_u64 s[0:1], s[0:1], s[4:5]
	s_mov_b32 s35, s23
	s_add_nc_u64 s[30:31], s[74:75], s[30:31]
	s_lshl_b64 s[20:21], s[20:21], 10
	s_lshr_b64 s[4:5], s[28:29], 26
	s_add_nc_u64 s[12:13], s[14:15], s[12:13]
	s_and_b32 s34, s0, 0x3ffffff
	s_lshr_b64 s[0:1], s[0:1], 26
	s_mul_u64 s[44:45], s[44:45], s[22:23]
	s_add_nc_u64 s[14:15], s[66:67], s[20:21]
	s_add_nc_u64 s[50:51], s[12:13], s[4:5]
	s_mul_u64 s[4:5], s[34:35], 0x3d10
	s_add_nc_u64 s[0:1], s[30:31], s[0:1]
	s_mov_b32 s37, s23
	s_add_nc_u64 s[44:45], s[56:57], s[44:45]
	s_lshl_b64 s[12:13], s[34:35], 10
	s_lshr_b64 s[20:21], s[50:51], 26
	s_add_nc_u64 s[4:5], s[14:15], s[4:5]
	s_and_b32 s36, s0, 0x3ffffff
	s_lshr_b64 s[0:1], s[0:1], 26
	s_add_nc_u64 s[12:13], s[44:45], s[12:13]
	s_add_nc_u64 s[4:5], s[4:5], s[20:21]
	s_mul_u64 s[14:15], s[36:37], 0x3d10
	s_add_nc_u64 s[0:1], s[52:53], s[0:1]
	s_mov_b32 s39, s23
	s_lshl_b64 s[20:21], s[36:37], 10
	s_lshr_b64 s[26:27], s[4:5], 26
	s_add_nc_u64 s[12:13], s[12:13], s[14:15]
	s_and_b32 s38, s0, 0x3ffffff
	s_lshr_b64 s[0:1], s[0:1], 26
	s_add_nc_u64 s[16:17], s[16:17], s[20:21]
	s_add_nc_u64 s[14:15], s[12:13], s[26:27]
	s_mul_u64 s[12:13], s[38:39], 0x3d10
	s_add_nc_u64 s[0:1], s[24:25], s[0:1]
	s_mov_b32 s43, s23
	s_add_nc_u64 s[56:57], s[76:77], s[90:91]
	s_lshl_b64 s[20:21], s[38:39], 10
	s_lshr_b64 s[24:25], s[14:15], 26
	s_add_nc_u64 s[12:13], s[16:17], s[12:13]
	s_and_b32 s42, s0, 0x3ffffff
	s_lshr_b64 s[0:1], s[0:1], 26
	s_add_nc_u64 s[16:17], s[56:57], s[20:21]
	s_add_nc_u64 s[44:45], s[12:13], s[24:25]
	s_mul_u64 s[12:13], s[42:43], 0x3d10
	s_add_nc_u64 s[0:1], s[0:1], s[64:65]
	s_mov_b32 s49, s23
	s_lshl_b64 s[20:21], s[42:43], 10
	s_lshr_b64 s[24:25], s[44:45], 26
	s_add_nc_u64 s[12:13], s[16:17], s[12:13]
	s_and_b32 s48, s0, 0x3ffffff
	s_lshr_b64 s[0:1], s[0:1], 26
	s_add_nc_u64 s[8:9], s[8:9], s[20:21]
	s_add_nc_u64 s[38:39], s[12:13], s[24:25]
	s_mul_u64 s[12:13], s[48:49], 0x3d10
	s_add_nc_u64 s[0:1], s[0:1], s[40:41]
	s_lshl_b64 s[16:17], s[48:49], 10
	s_lshr_b64 s[20:21], s[38:39], 26
	s_add_nc_u64 s[8:9], s[8:9], s[12:13]
	s_and_b32 s22, s0, 0x3ffffff
	s_lshr_b64 s[0:1], s[0:1], 26
	s_add_nc_u64 s[2:3], s[2:3], s[16:17]
	s_add_nc_u64 s[34:35], s[8:9], s[20:21]
	s_mul_u64 s[8:9], s[22:23], 0x3d10
	s_and_b64 s[10:11], s[10:11], 0x3fffffe
	s_mul_u64 s[12:13], s[0:1], 0x3d10
	s_lshr_b64 s[20:21], s[34:35], 26
	s_add_nc_u64 s[2:3], s[2:3], s[8:9]
	s_lshl_b64 s[16:17], s[22:23], 10
	s_add_nc_u64 s[8:9], s[12:13], s[10:11]
	s_add_nc_u64 s[12:13], s[2:3], s[20:21]
	;; [unrolled: 1-line block ×3, first 2 shown]
	s_lshr_b64 s[8:9], s[12:13], 26
	s_lshl_b64 s[0:1], s[0:1], 14
	s_add_nc_u64 s[26:27], s[2:3], s[8:9]
	s_and_b64 s[8:9], s[18:19], 0x3fffffd
	s_lshr_b64 s[2:3], s[26:27], 22
	s_mov_b32 s7, s23
	s_add_nc_u64 s[0:1], s[2:3], s[0:1]
	s_and_b32 s6, s28, 0x3ffffff
	s_mul_u64 s[2:3], s[0:1], 0x3d1
	s_lshl_b64 s[0:1], s[0:1], 6
	s_add_nc_u64 s[20:21], s[2:3], s[8:9]
	s_add_nc_u64 s[0:1], s[0:1], s[6:7]
	s_lshr_b64 s[2:3], s[20:21], 26
	s_mov_b32 s11, s23
	s_add_nc_u64 s[18:19], s[0:1], s[2:3]
	s_add_co_i32 s33, s33, -1
	s_and_b32 s10, s50, 0x3ffffff
	s_lshr_b64 s[0:1], s[18:19], 26
	s_cmp_lg_u32 s33, 0
	s_add_nc_u64 s[24:25], s[0:1], s[10:11]
	s_cbranch_scc1 .LBB0_19
; %bb.20:
	v_readlane_b32 s64, v18, 28
	v_readlane_b32 s65, v18, 29
	s_mov_b32 s19, 0
	v_readlane_b32 s68, v18, 14
	v_readlane_b32 s69, v18, 15
	s_and_b32 s2, s4, 0x3ffffff
	s_mov_b32 s3, s19
	s_and_b32 s10, s14, 0x3ffffff
	s_mov_b32 s11, s19
	v_readlane_b32 s72, v18, 20
	v_readlane_b32 s73, v18, 21
	s_and_b64 s[6:7], s[20:21], 0x3ffffff
	s_mul_u64 s[20:21], s[2:3], s[64:65]
	s_and_b32 s16, s44, 0x3ffffff
	s_mov_b32 s17, s19
	s_mul_u64 s[14:15], s[10:11], s[98:99]
	v_readlane_b32 s46, v18, 12
	v_readlane_b32 s47, v18, 13
	s_mul_u64 s[22:23], s[16:17], s[68:69]
	s_and_b32 s8, s38, 0x3ffffff
	s_mov_b32 s9, s19
	s_add_nc_u64 s[14:15], s[14:15], s[20:21]
	v_readlane_b32 s70, v18, 16
	v_readlane_b32 s71, v18, 17
	s_and_b32 s0, s34, 0x3ffffff
	s_mov_b32 s1, s19
	s_mul_u64 s[28:29], s[8:9], s[72:73]
	s_add_nc_u64 s[14:15], s[14:15], s[22:23]
	v_readlane_b32 s74, v18, 18
	v_readlane_b32 s75, v18, 19
	;; [unrolled: 1-line block ×3, first 2 shown]
	s_mul_u64 s[30:31], s[0:1], s[46:47]
	s_and_b32 s12, s12, 0x3ffffff
	s_mov_b32 s13, s19
	s_add_nc_u64 s[14:15], s[14:15], s[28:29]
	v_readlane_b32 s63, v18, 31
	s_mul_u64 s[20:21], s[12:13], s[70:71]
	s_and_b64 s[22:23], s[26:27], 0x3fffff
	s_add_nc_u64 s[14:15], s[14:15], s[30:31]
	v_readlane_b32 s66, v18, 24
	v_readlane_b32 s67, v18, 25
	s_mul_u64 s[26:27], s[22:23], s[74:75]
	s_add_nc_u64 s[14:15], s[14:15], s[20:21]
	v_readlane_b32 s76, v18, 22
	v_readlane_b32 s77, v18, 23
	s_mul_u64 s[4:5], s[6:7], s[62:63]
	s_and_b32 s18, s18, 0x3ffffff
	s_add_nc_u64 s[14:15], s[14:15], s[26:27]
	s_mul_u64 s[20:21], s[18:19], s[66:67]
	s_add_nc_u64 s[4:5], s[14:15], s[4:5]
	s_mul_u64 s[14:15], s[24:25], s[76:77]
	;; [unrolled: 2-line block ×4, first 2 shown]
	s_mul_u64 s[26:27], s[16:17], s[98:99]
	s_add_nc_u64 s[14:15], s[20:21], s[14:15]
	s_mul_u64 s[20:21], s[8:9], s[68:69]
	s_add_nc_u64 s[14:15], s[14:15], s[26:27]
	;; [unrolled: 2-line block ×7, first 2 shown]
	s_lshr_b64 s[20:21], s[4:5], 26
	s_add_nc_u64 s[14:15], s[14:15], s[26:27]
	s_and_b32 s30, s4, 0x3ffffff
	s_add_nc_u64 s[14:15], s[14:15], s[20:21]
	s_mov_b32 s5, s19
	s_and_b32 s4, s14, 0x3ffffff
	s_mul_u64 s[20:21], s[6:7], s[74:75]
	s_mul_u64 s[26:27], s[4:5], 0x3d10
	;; [unrolled: 1-line block ×3, first 2 shown]
	s_add_nc_u64 s[34:35], s[26:27], s[20:21]
	s_mul_u64 s[26:27], s[2:3], s[66:67]
	s_mul_u64 s[36:37], s[16:17], s[64:65]
	s_add_nc_u64 s[26:27], s[28:29], s[26:27]
	s_mul_u64 s[28:29], s[8:9], s[98:99]
	s_add_nc_u64 s[26:27], s[26:27], s[36:37]
	;; [unrolled: 2-line block ×6, first 2 shown]
	s_lshr_b64 s[14:15], s[14:15], 26
	s_add_nc_u64 s[26:27], s[26:27], s[28:29]
	s_mul_u64 s[28:29], s[6:7], s[70:71]
	s_add_nc_u64 s[14:15], s[26:27], s[14:15]
	s_mul_u64 s[26:27], s[18:19], s[74:75]
	s_lshl_b64 s[4:5], s[4:5], 10
	s_add_nc_u64 s[26:27], s[26:27], s[28:29]
	s_lshr_b64 s[20:21], s[34:35], 26
	s_and_b32 s36, s14, 0x3ffffff
	s_mov_b32 s37, s19
	s_add_nc_u64 s[4:5], s[26:27], s[4:5]
	s_mul_u64 s[26:27], s[36:37], 0x3d10
	s_add_nc_u64 s[4:5], s[4:5], s[20:21]
	s_mul_u64 s[28:29], s[10:11], s[66:67]
	;; [unrolled: 2-line block ×3, first 2 shown]
	s_lshl_b64 s[4:5], s[36:37], 10
	s_mul_u64 s[36:37], s[16:17], s[76:77]
	s_add_nc_u64 s[26:27], s[28:29], s[26:27]
	s_mul_u64 s[28:29], s[8:9], s[64:65]
	s_add_nc_u64 s[26:27], s[26:27], s[36:37]
	;; [unrolled: 2-line block ×5, first 2 shown]
	s_lshr_b64 s[14:15], s[14:15], 26
	s_mul_u64 s[28:29], s[6:7], s[46:47]
	s_add_nc_u64 s[26:27], s[26:27], s[36:37]
	s_mul_u64 s[36:37], s[18:19], s[70:71]
	s_add_nc_u64 s[14:15], s[26:27], s[14:15]
	;; [unrolled: 2-line block ×3, first 2 shown]
	s_and_b32 s40, s14, 0x3ffffff
	s_mov_b32 s41, s19
	s_add_nc_u64 s[26:27], s[28:29], s[26:27]
	s_mul_u64 s[28:29], s[40:41], 0x3d10
	s_add_nc_u64 s[4:5], s[26:27], s[4:5]
	s_lshr_b64 s[26:27], s[20:21], 26
	s_add_nc_u64 s[4:5], s[4:5], s[28:29]
	s_mul_u64 s[36:37], s[10:11], s[62:63]
	s_add_nc_u64 s[38:39], s[4:5], s[26:27]
	s_lshl_b64 s[4:5], s[40:41], 10
	s_mul_u64 s[40:41], s[16:17], s[66:67]
	s_mul_u64 s[42:43], s[8:9], s[76:77]
	s_add_nc_u64 s[36:37], s[40:41], s[36:37]
	s_mul_u64 s[40:41], s[0:1], s[64:65]
	s_add_nc_u64 s[36:37], s[36:37], s[42:43]
	;; [unrolled: 2-line block ×5, first 2 shown]
	s_mul_u64 s[40:41], s[2:3], s[74:75]
	s_lshr_b64 s[14:15], s[14:15], 26
	s_mul_u64 s[28:29], s[18:19], s[46:47]
	s_add_nc_u64 s[26:27], s[26:27], s[40:41]
	s_mul_u64 s[44:45], s[16:17], s[62:63]
	s_mul_u64 s[48:49], s[8:9], s[66:67]
	;; [unrolled: 1-line block ×3, first 2 shown]
	s_add_nc_u64 s[14:15], s[36:37], s[14:15]
	s_add_nc_u64 s[26:27], s[26:27], s[28:29]
	s_mul_u64 s[50:51], s[0:1], s[76:77]
	s_add_nc_u64 s[44:45], s[48:49], s[44:45]
	s_and_b32 s36, s14, 0x3ffffff
	s_mov_b32 s37, s19
	s_add_nc_u64 s[26:27], s[26:27], s[42:43]
	s_mul_u64 s[48:49], s[12:13], s[64:65]
	s_add_nc_u64 s[44:45], s[44:45], s[50:51]
	s_mul_u64 s[28:29], s[36:37], 0x3d10
	;; [unrolled: 2-line block ×4, first 2 shown]
	s_lshr_b64 s[26:27], s[38:39], 26
	s_add_nc_u64 s[4:5], s[4:5], s[28:29]
	s_mul_u64 s[28:29], s[6:7], s[68:69]
	s_mul_u64 s[50:51], s[22:23], s[98:99]
	s_add_nc_u64 s[42:43], s[48:49], s[42:43]
	s_lshr_b64 s[14:15], s[14:15], 26
	s_add_nc_u64 s[4:5], s[4:5], s[26:27]
	s_lshl_b64 s[26:27], s[36:37], 10
	s_mul_u64 s[36:37], s[18:19], s[72:73]
	s_add_nc_u64 s[44:45], s[44:45], s[50:51]
	s_add_nc_u64 s[28:29], s[42:43], s[28:29]
	s_mul_u64 s[40:41], s[24:25], s[46:47]
	s_add_nc_u64 s[14:15], s[44:45], s[14:15]
	s_add_nc_u64 s[28:29], s[28:29], s[36:37]
	s_and_b32 s42, s14, 0x3ffffff
	s_mov_b32 s43, s19
	s_add_nc_u64 s[28:29], s[28:29], s[40:41]
	s_mul_u64 s[36:37], s[42:43], 0x3d10
	s_add_nc_u64 s[26:27], s[28:29], s[26:27]
	s_mul_u64 s[44:45], s[2:3], s[46:47]
	s_mul_u64 s[48:49], s[10:11], s[70:71]
	s_mul_u64 s[52:53], s[8:9], s[62:63]
	s_mul_u64 s[54:55], s[0:1], s[66:67]
	s_lshr_b64 s[28:29], s[4:5], 26
	s_add_nc_u64 s[26:27], s[26:27], s[36:37]
	s_mul_u64 s[50:51], s[16:17], s[74:75]
	s_mul_u64 s[56:57], s[12:13], s[76:77]
	s_add_nc_u64 s[52:53], s[54:55], s[52:53]
	s_add_nc_u64 s[44:45], s[48:49], s[44:45]
	s_lshr_b64 s[36:37], s[14:15], 26
	s_add_nc_u64 s[14:15], s[26:27], s[28:29]
	s_mul_u64 s[28:29], s[6:7], s[98:99]
	s_mul_u64 s[54:55], s[22:23], s[64:65]
	s_add_nc_u64 s[52:53], s[52:53], s[56:57]
	s_add_nc_u64 s[44:45], s[44:45], s[50:51]
	s_mul_u64 s[40:41], s[18:19], s[68:69]
	s_add_nc_u64 s[48:49], s[52:53], s[54:55]
	s_add_nc_u64 s[28:29], s[44:45], s[28:29]
	s_lshl_b64 s[26:27], s[42:43], 10
	s_mul_u64 s[42:43], s[24:25], s[72:73]
	s_add_nc_u64 s[36:37], s[48:49], s[36:37]
	s_add_nc_u64 s[28:29], s[28:29], s[40:41]
	s_and_b32 s44, s36, 0x3ffffff
	s_mov_b32 s45, s19
	s_add_nc_u64 s[28:29], s[28:29], s[42:43]
	s_mul_u64 s[48:49], s[2:3], s[72:73]
	s_mul_u64 s[50:51], s[10:11], s[46:47]
	;; [unrolled: 1-line block ×3, first 2 shown]
	s_add_nc_u64 s[26:27], s[28:29], s[26:27]
	s_mul_u64 s[52:53], s[16:17], s[70:71]
	s_mul_u64 s[56:57], s[0:1], s[62:63]
	;; [unrolled: 1-line block ×3, first 2 shown]
	s_add_nc_u64 s[48:49], s[50:51], s[48:49]
	s_lshr_b64 s[28:29], s[14:15], 26
	s_add_nc_u64 s[26:27], s[26:27], s[40:41]
	s_mul_u64 s[54:55], s[8:9], s[74:75]
	s_mul_u64 s[60:61], s[22:23], s[76:77]
	s_add_nc_u64 s[50:51], s[58:59], s[56:57]
	s_add_nc_u64 s[48:49], s[48:49], s[52:53]
	s_lshr_b64 s[40:41], s[36:37], 26
	s_add_nc_u64 s[36:37], s[26:27], s[28:29]
	s_mul_u64 s[28:29], s[6:7], s[64:65]
	s_add_nc_u64 s[50:51], s[50:51], s[60:61]
	s_add_nc_u64 s[48:49], s[48:49], s[54:55]
	s_mul_u64 s[42:43], s[18:19], s[98:99]
	s_add_nc_u64 s[40:41], s[50:51], s[40:41]
	s_add_nc_u64 s[28:29], s[48:49], s[28:29]
	s_mul_u64 s[50:51], s[2:3], s[68:69]
	s_mul_u64 s[52:53], s[10:11], s[72:73]
	s_lshl_b64 s[26:27], s[44:45], 10
	s_mul_u64 s[44:45], s[24:25], s[68:69]
	s_add_nc_u64 s[28:29], s[28:29], s[42:43]
	s_mul_u64 s[54:55], s[16:17], s[46:47]
	s_add_nc_u64 s[50:51], s[52:53], s[50:51]
	s_and_b32 s48, s40, 0x3ffffff
	s_mov_b32 s49, s19
	s_add_nc_u64 s[28:29], s[28:29], s[44:45]
	s_mul_u64 s[56:57], s[8:9], s[70:71]
	s_add_nc_u64 s[50:51], s[50:51], s[54:55]
	s_mul_u64 s[42:43], s[48:49], 0x3d10
	;; [unrolled: 2-line block ×4, first 2 shown]
	s_mul_u64 s[10:11], s[10:11], s[68:69]
	s_add_nc_u64 s[26:27], s[26:27], s[42:43]
	s_mul_u64 s[42:43], s[6:7], s[76:77]
	s_mul_u64 s[52:53], s[12:13], s[62:63]
	;; [unrolled: 1-line block ×3, first 2 shown]
	s_add_nc_u64 s[50:51], s[50:51], s[58:59]
	s_mul_u64 s[16:17], s[16:17], s[72:73]
	s_add_nc_u64 s[2:3], s[10:11], s[2:3]
	s_lshr_b64 s[28:29], s[36:37], 26
	s_lshr_b64 s[40:41], s[40:41], 26
	s_mul_u64 s[44:45], s[18:19], s[64:65]
	s_add_nc_u64 s[52:53], s[54:55], s[52:53]
	s_add_nc_u64 s[42:43], s[50:51], s[42:43]
	s_mul_u64 s[8:9], s[8:9], s[46:47]
	s_add_nc_u64 s[2:3], s[2:3], s[16:17]
	s_add_nc_u64 s[28:29], s[26:27], s[28:29]
	s_lshl_b64 s[26:27], s[48:49], 10
	s_mul_u64 s[48:49], s[24:25], s[98:99]
	s_add_nc_u64 s[40:41], s[52:53], s[40:41]
	s_add_nc_u64 s[42:43], s[42:43], s[44:45]
	s_mul_u64 s[0:1], s[0:1], s[70:71]
	s_add_nc_u64 s[2:3], s[2:3], s[8:9]
	s_and_b32 s50, s40, 0x3ffffff
	s_mov_b32 s51, s19
	s_add_nc_u64 s[42:43], s[42:43], s[48:49]
	s_mul_u64 s[8:9], s[12:13], s[74:75]
	s_add_nc_u64 s[0:1], s[2:3], s[0:1]
	s_mul_u64 s[44:45], s[50:51], 0x3d10
	;; [unrolled: 2-line block ×3, first 2 shown]
	s_add_nc_u64 s[0:1], s[0:1], s[8:9]
	s_add_nc_u64 s[26:27], s[26:27], s[44:45]
	s_lshr_b64 s[40:41], s[40:41], 26
	s_mul_u64 s[44:45], s[18:19], s[76:77]
	s_mul_u64 s[8:9], s[22:23], s[62:63]
	s_add_nc_u64 s[0:1], s[0:1], s[6:7]
	s_lshr_b64 s[42:43], s[28:29], 26
	s_mul_u64 s[2:3], s[24:25], s[64:65]
	s_add_nc_u64 s[6:7], s[40:41], s[8:9]
	s_add_nc_u64 s[0:1], s[0:1], s[44:45]
	;; [unrolled: 1-line block ×3, first 2 shown]
	s_lshl_b64 s[42:43], s[50:51], 10
	s_and_b32 s18, s6, 0x3ffffff
	s_add_nc_u64 s[0:1], s[0:1], s[2:3]
	s_mul_u64 s[2:3], s[18:19], 0x3d10
	s_add_nc_u64 s[0:1], s[0:1], s[42:43]
	s_lshr_b64 s[8:9], s[26:27], 26
	s_add_nc_u64 s[0:1], s[0:1], s[2:3]
	s_lshr_b64 s[2:3], s[6:7], 26
	s_mov_b32 s31, s19
	s_add_nc_u64 s[12:13], s[0:1], s[8:9]
	s_mul_u64 s[0:1], s[2:3], 0x3d10
	s_lshl_b64 s[6:7], s[18:19], 10
	s_add_nc_u64 s[0:1], s[0:1], s[30:31]
	s_lshr_b64 s[8:9], s[12:13], 26
	s_add_nc_u64 s[0:1], s[0:1], s[6:7]
	s_lshl_b64 s[2:3], s[2:3], 14
	s_add_nc_u64 s[24:25], s[0:1], s[8:9]
	s_and_b32 s0, s34, 0x3ffffff
	s_lshr_b64 s[6:7], s[24:25], 22
	s_mov_b32 s1, s19
	s_add_nc_u64 s[2:3], s[6:7], s[2:3]
	s_and_b32 s6, s20, 0x3ffffff
	s_mul_u64 s[8:9], s[2:3], 0x3d1
	s_mov_b32 s7, s19
	s_add_nc_u64 s[30:31], s[8:9], s[0:1]
	s_lshl_b64 s[0:1], s[2:3], 6
	s_lshr_b64 s[2:3], s[30:31], 26
	s_add_nc_u64 s[0:1], s[0:1], s[6:7]
	v_readlane_b32 s44, v19, 0
	s_add_nc_u64 s[20:21], s[0:1], s[2:3]
	v_readlane_b32 s98, v18, 10
	v_readlane_b32 s100, v18, 6
	;; [unrolled: 1-line block ×8, first 2 shown]
	s_and_b32 s6, s38, 0x3ffffff
	s_lshr_b64 s[0:1], s[20:21], 26
	s_mov_b32 s33, 23
	s_add_nc_u64 s[22:23], s[0:1], s[6:7]
	v_readlane_b32 s45, v19, 1
.LBB0_21:                               ; =>This Inner Loop Header: Depth=1
	s_and_b64 s[0:1], s[24:25], 0x3fffff
	s_lshl_b32 s24, s20, 1
	s_lshl_b32 s34, s4, 1
	;; [unrolled: 1-line block ×5, first 2 shown]
	s_mov_b32 s39, s19
	s_mov_b32 s15, s19
	s_and_b32 s10, s28, 0x3ffffff
	s_mov_b32 s11, s19
	s_mov_b32 s25, s19
	s_and_b32 s16, s36, 0x3ffffff
	s_mov_b32 s17, s19
	s_and_b64 s[50:51], s[30:31], 0x3ffffff
	s_and_b32 s30, s20, 0x3ffffff
	s_lshl_b32 s20, s36, 1
	s_and_b32 s52, s4, 0x3ffffff
	s_mov_b32 s53, s19
	s_and_b32 s48, s14, 0x3ffffff
	s_mov_b32 s49, s19
	s_and_b32 s4, s24, 0x7fffffe
	s_and_b32 s14, s34, 0x7fffffe
	;; [unrolled: 1-line block ×4, first 2 shown]
	s_mov_b32 s9, s19
	s_mov_b32 s29, s19
	s_lshl_b32 s36, s28, 1
	s_and_b32 s28, s20, 0x7fffffe
	s_mul_u64 s[78:79], s[48:49], s[38:39]
	s_mul_u64 s[80:81], s[52:53], s[52:53]
	;; [unrolled: 1-line block ×4, first 2 shown]
	s_mov_b32 s31, s19
	s_and_b32 s18, s6, 0x7fffffe
	s_mul_u64 s[66:67], s[16:17], s[16:17]
	s_mul_u64 s[94:95], s[10:11], s[24:25]
	s_add_nc_u64 s[78:79], s[78:79], s[80:81]
	s_mul_u64 s[80:81], s[8:9], s[24:25]
	s_add_nc_u64 s[90:91], s[90:91], s[92:93]
	s_mul_u64 s[92:93], s[28:29], s[10:11]
	s_and_b32 s2, s12, 0x3ffffff
	s_mov_b32 s3, s19
	s_mov_b32 s55, s19
	s_mul_u64 s[70:71], s[30:31], s[30:31]
	s_mul_u64 s[72:73], s[10:11], s[10:11]
	s_and_b32 s54, s36, 0x7fffffe
	s_add_nc_u64 s[94:95], s[94:95], s[66:67]
	s_mul_u64 s[66:67], s[8:9], s[28:29]
	s_add_nc_u64 s[80:81], s[80:81], s[92:93]
	s_mul_u64 s[92:93], s[18:19], s[22:23]
	s_mov_b32 s5, s19
	s_add_nc_u64 s[72:73], s[66:67], s[72:73]
	s_mul_u64 s[66:67], s[2:3], s[28:29]
	s_add_nc_u64 s[70:71], s[92:93], s[70:71]
	s_mul_u64 s[92:93], s[54:55], s[8:9]
	s_mul_u64 s[56:57], s[22:23], s[22:23]
	s_lshl_b32 s26, s26, 1
	s_add_nc_u64 s[92:93], s[66:67], s[92:93]
	s_mul_u64 s[66:67], s[52:53], s[18:19]
	s_mul_u64 s[22:23], s[4:5], s[22:23]
	s_mov_b32 s63, s19
	s_mul_u64 s[74:75], s[8:9], s[8:9]
	s_and_b32 s62, s26, 0x7fffffe
	s_add_nc_u64 s[66:67], s[66:67], s[22:23]
	s_mul_u64 s[22:23], s[2:3], s[54:55]
	s_mul_u64 s[76:77], s[38:39], s[52:53]
	;; [unrolled: 1-line block ×4, first 2 shown]
	s_add_nc_u64 s[74:75], s[22:23], s[74:75]
	s_mul_u64 s[22:23], s[62:63], s[2:3]
	s_add_nc_u64 s[56:57], s[52:53], s[56:57]
	s_add_nc_u64 s[52:53], s[54:55], s[22:23]
	s_mul_u64 s[22:23], s[48:49], s[4:5]
	s_mul_u64 s[68:69], s[8:9], s[38:39]
	;; [unrolled: 1-line block ×4, first 2 shown]
	s_add_nc_u64 s[62:63], s[22:23], s[76:77]
	s_mul_u64 s[76:77], s[16:17], s[4:5]
	s_lshl_b32 s12, s12, 1
	s_mul_u64 s[84:85], s[16:17], s[38:39]
	s_mul_u64 s[88:89], s[48:49], s[48:49]
	s_add_nc_u64 s[22:23], s[54:55], s[82:83]
	s_mul_u64 s[54:55], s[14:15], s[48:49]
	s_add_nc_u64 s[76:77], s[78:79], s[76:77]
	;; [unrolled: 2-line block ×3, first 2 shown]
	s_mul_u64 s[90:91], s[2:3], s[14:15]
	s_mov_b32 s65, s19
	s_and_b32 s64, s12, 0x7fffffe
	s_mul_u64 s[86:87], s[10:11], s[38:39]
	s_add_nc_u64 s[54:55], s[84:85], s[54:55]
	s_mul_u64 s[82:83], s[2:3], s[4:5]
	s_add_nc_u64 s[78:79], s[78:79], s[88:89]
	s_mul_u64 s[88:89], s[8:9], s[14:15]
	s_mul_u64 s[16:17], s[16:17], s[18:19]
	s_add_nc_u64 s[80:81], s[80:81], s[90:91]
	s_mul_u64 s[90:91], s[10:11], s[18:19]
	s_mul_u64 s[10:11], s[10:11], s[4:5]
	;; [unrolled: 1-line block ×7, first 2 shown]
	s_add_nc_u64 s[88:89], s[94:95], s[88:89]
	s_mul_u64 s[14:15], s[0:1], s[14:15]
	s_mul_u64 s[28:29], s[0:1], s[28:29]
	;; [unrolled: 1-line block ×7, first 2 shown]
	s_add_nc_u64 s[16:17], s[62:63], s[16:17]
	s_add_nc_u64 s[10:11], s[54:55], s[10:11]
	;; [unrolled: 1-line block ×4, first 2 shown]
	s_mul_u64 s[2:3], s[2:3], s[18:19]
	s_add_nc_u64 s[24:25], s[72:73], s[24:25]
	s_add_nc_u64 s[58:59], s[88:89], s[58:59]
	;; [unrolled: 1-line block ×8, first 2 shown]
	s_lshr_b64 s[4:5], s[10:11], 26
	s_mov_b32 s13, s19
	s_add_nc_u64 s[4:5], s[24:25], s[4:5]
	s_add_nc_u64 s[60:61], s[80:81], s[60:61]
	s_and_b32 s12, s4, 0x3ffffff
	s_lshr_b64 s[4:5], s[4:5], 26
	s_mul_u64 s[50:51], s[50:51], s[50:51]
	s_mul_u64 s[24:25], s[12:13], 0x3d10
	s_add_nc_u64 s[4:5], s[60:61], s[4:5]
	s_mul_u64 s[30:31], s[18:19], s[30:31]
	s_lshl_b64 s[12:13], s[12:13], 10
	s_add_nc_u64 s[50:51], s[24:25], s[50:51]
	s_and_b32 s26, s4, 0x3ffffff
	s_lshr_b64 s[4:5], s[4:5], 26
	s_mov_b32 s27, s19
	s_add_nc_u64 s[12:13], s[12:13], s[30:31]
	s_lshr_b64 s[24:25], s[50:51], 26
	s_add_nc_u64 s[4:5], s[14:15], s[4:5]
	s_mov_b32 s21, s19
	s_add_nc_u64 s[0:1], s[92:93], s[0:1]
	s_mul_u64 s[30:31], s[26:27], 0x3d10
	s_lshl_b64 s[26:27], s[26:27], 10
	s_add_nc_u64 s[12:13], s[12:13], s[24:25]
	s_and_b32 s20, s4, 0x3ffffff
	s_lshr_b64 s[4:5], s[4:5], 26
	s_add_nc_u64 s[14:15], s[70:71], s[26:27]
	s_add_nc_u64 s[30:31], s[12:13], s[30:31]
	s_mul_u64 s[12:13], s[20:21], 0x3d10
	s_add_nc_u64 s[0:1], s[0:1], s[4:5]
	s_mov_b32 s35, s19
	s_add_nc_u64 s[28:29], s[74:75], s[28:29]
	s_lshl_b64 s[20:21], s[20:21], 10
	s_lshr_b64 s[4:5], s[30:31], 26
	s_add_nc_u64 s[12:13], s[14:15], s[12:13]
	s_and_b32 s34, s0, 0x3ffffff
	s_lshr_b64 s[0:1], s[0:1], 26
	s_mul_u64 s[48:49], s[48:49], s[18:19]
	s_add_nc_u64 s[14:15], s[66:67], s[20:21]
	s_add_nc_u64 s[54:55], s[12:13], s[4:5]
	s_mul_u64 s[4:5], s[34:35], 0x3d10
	s_add_nc_u64 s[0:1], s[28:29], s[0:1]
	s_mov_b32 s37, s19
	s_add_nc_u64 s[48:49], s[56:57], s[48:49]
	s_lshl_b64 s[12:13], s[34:35], 10
	s_lshr_b64 s[20:21], s[54:55], 26
	s_add_nc_u64 s[4:5], s[14:15], s[4:5]
	s_and_b32 s36, s0, 0x3ffffff
	s_lshr_b64 s[0:1], s[0:1], 26
	s_add_nc_u64 s[12:13], s[48:49], s[12:13]
	s_add_nc_u64 s[4:5], s[4:5], s[20:21]
	s_mul_u64 s[14:15], s[36:37], 0x3d10
	s_add_nc_u64 s[0:1], s[52:53], s[0:1]
	s_mov_b32 s41, s19
	s_lshl_b64 s[20:21], s[36:37], 10
	s_lshr_b64 s[24:25], s[4:5], 26
	s_add_nc_u64 s[12:13], s[12:13], s[14:15]
	s_and_b32 s40, s0, 0x3ffffff
	s_lshr_b64 s[0:1], s[0:1], 26
	s_add_nc_u64 s[16:17], s[16:17], s[20:21]
	s_add_nc_u64 s[14:15], s[12:13], s[24:25]
	s_mul_u64 s[12:13], s[40:41], 0x3d10
	s_add_nc_u64 s[0:1], s[22:23], s[0:1]
	s_mov_b32 s43, s19
	s_add_nc_u64 s[56:57], s[76:77], s[90:91]
	s_lshl_b64 s[20:21], s[40:41], 10
	s_lshr_b64 s[22:23], s[14:15], 26
	s_add_nc_u64 s[12:13], s[16:17], s[12:13]
	s_and_b32 s42, s0, 0x3ffffff
	s_lshr_b64 s[0:1], s[0:1], 26
	s_add_nc_u64 s[16:17], s[56:57], s[20:21]
	s_add_nc_u64 s[36:37], s[12:13], s[22:23]
	s_mul_u64 s[12:13], s[42:43], 0x3d10
	s_add_nc_u64 s[0:1], s[0:1], s[64:65]
	s_mov_b32 s45, s19
	s_lshl_b64 s[20:21], s[42:43], 10
	s_lshr_b64 s[22:23], s[36:37], 26
	s_add_nc_u64 s[12:13], s[16:17], s[12:13]
	s_and_b32 s44, s0, 0x3ffffff
	s_lshr_b64 s[0:1], s[0:1], 26
	s_add_nc_u64 s[8:9], s[8:9], s[20:21]
	s_add_nc_u64 s[28:29], s[12:13], s[22:23]
	s_mul_u64 s[12:13], s[44:45], 0x3d10
	s_add_nc_u64 s[0:1], s[0:1], s[38:39]
	s_lshl_b64 s[16:17], s[44:45], 10
	s_lshr_b64 s[20:21], s[28:29], 26
	s_add_nc_u64 s[8:9], s[8:9], s[12:13]
	s_and_b32 s18, s0, 0x3ffffff
	s_lshr_b64 s[0:1], s[0:1], 26
	s_add_nc_u64 s[2:3], s[2:3], s[16:17]
	s_add_nc_u64 s[26:27], s[8:9], s[20:21]
	s_mul_u64 s[8:9], s[18:19], 0x3d10
	s_and_b64 s[10:11], s[10:11], 0x3fffffe
	s_mul_u64 s[12:13], s[0:1], 0x3d10
	s_lshr_b64 s[20:21], s[26:27], 26
	s_add_nc_u64 s[2:3], s[2:3], s[8:9]
	s_lshl_b64 s[16:17], s[18:19], 10
	s_add_nc_u64 s[8:9], s[12:13], s[10:11]
	s_add_nc_u64 s[12:13], s[2:3], s[20:21]
	;; [unrolled: 1-line block ×3, first 2 shown]
	s_lshr_b64 s[8:9], s[12:13], 26
	s_lshl_b64 s[0:1], s[0:1], 14
	s_add_nc_u64 s[24:25], s[2:3], s[8:9]
	s_and_b64 s[8:9], s[50:51], 0x3fffffd
	s_lshr_b64 s[2:3], s[24:25], 22
	s_mov_b32 s7, s19
	s_add_nc_u64 s[0:1], s[2:3], s[0:1]
	s_and_b32 s6, s30, 0x3ffffff
	s_mul_u64 s[2:3], s[0:1], 0x3d1
	s_lshl_b64 s[0:1], s[0:1], 6
	s_add_nc_u64 s[30:31], s[2:3], s[8:9]
	s_add_nc_u64 s[0:1], s[0:1], s[6:7]
	s_lshr_b64 s[2:3], s[30:31], 26
	s_mov_b32 s11, s19
	s_add_nc_u64 s[20:21], s[0:1], s[2:3]
	s_add_co_i32 s33, s33, -1
	s_and_b32 s10, s54, 0x3ffffff
	s_lshr_b64 s[0:1], s[20:21], 26
	s_cmp_lg_u32 s33, 0
	s_add_nc_u64 s[22:23], s[0:1], s[10:11]
	s_cbranch_scc1 .LBB0_21
; %bb.22:
	v_readlane_b32 s66, v17, 8
	v_readlane_b32 s70, v17, 0
	;; [unrolled: 1-line block ×4, first 2 shown]
	s_mov_b32 s19, 0
	v_readlane_b32 s72, v17, 12
	v_readlane_b32 s73, v17, 13
	s_and_b32 s2, s4, 0x3ffffff
	s_mov_b32 s3, s19
	s_and_b32 s10, s14, 0x3ffffff
	s_mov_b32 s11, s19
	v_readlane_b32 s76, v17, 14
	v_readlane_b32 s77, v17, 15
	s_and_b64 s[6:7], s[30:31], 0x3ffffff
	s_mul_u64 s[30:31], s[2:3], s[66:67]
	s_and_b32 s16, s36, 0x3ffffff
	s_mov_b32 s17, s19
	s_mul_u64 s[14:15], s[10:11], s[70:71]
	v_readlane_b32 s62, v17, 2
	v_readlane_b32 s63, v17, 3
	s_mul_u64 s[34:35], s[16:17], s[72:73]
	s_and_b32 s8, s28, 0x3ffffff
	s_mov_b32 s9, s19
	s_add_nc_u64 s[14:15], s[14:15], s[30:31]
	v_readlane_b32 s74, v17, 16
	v_readlane_b32 s75, v17, 17
	s_and_b32 s0, s26, 0x3ffffff
	s_mov_b32 s1, s19
	s_mul_u64 s[26:27], s[8:9], s[76:77]
	s_add_nc_u64 s[14:15], s[14:15], s[34:35]
	v_readlane_b32 s78, v17, 18
	v_readlane_b32 s79, v17, 19
	;; [unrolled: 1-line block ×3, first 2 shown]
	s_mul_u64 s[28:29], s[0:1], s[62:63]
	s_and_b32 s12, s12, 0x3ffffff
	s_mov_b32 s13, s19
	s_add_nc_u64 s[14:15], s[14:15], s[26:27]
	v_readlane_b32 s65, v17, 5
	s_mul_u64 s[30:31], s[12:13], s[74:75]
	s_and_b64 s[24:25], s[24:25], 0x3fffff
	s_add_nc_u64 s[14:15], s[14:15], s[28:29]
	v_readlane_b32 s68, v17, 6
	v_readlane_b32 s69, v17, 7
	s_mul_u64 s[26:27], s[24:25], s[78:79]
	s_add_nc_u64 s[14:15], s[14:15], s[30:31]
	v_readlane_b32 s80, v17, 10
	v_readlane_b32 s81, v17, 11
	s_mul_u64 s[4:5], s[6:7], s[64:65]
	s_and_b32 s18, s20, 0x3ffffff
	s_add_nc_u64 s[14:15], s[14:15], s[26:27]
	s_mul_u64 s[20:21], s[18:19], s[68:69]
	s_add_nc_u64 s[4:5], s[14:15], s[4:5]
	s_mul_u64 s[14:15], s[22:23], s[80:81]
	;; [unrolled: 2-line block ×4, first 2 shown]
	s_mul_u64 s[26:27], s[16:17], s[70:71]
	s_add_nc_u64 s[14:15], s[20:21], s[14:15]
	s_mul_u64 s[20:21], s[8:9], s[72:73]
	s_add_nc_u64 s[14:15], s[14:15], s[26:27]
	;; [unrolled: 2-line block ×7, first 2 shown]
	s_lshr_b64 s[20:21], s[4:5], 26
	s_add_nc_u64 s[14:15], s[14:15], s[26:27]
	s_and_b32 s30, s4, 0x3ffffff
	s_add_nc_u64 s[14:15], s[14:15], s[20:21]
	s_mov_b32 s5, s19
	s_and_b32 s4, s14, 0x3ffffff
	s_mul_u64 s[20:21], s[6:7], s[78:79]
	s_mul_u64 s[26:27], s[4:5], 0x3d10
	;; [unrolled: 1-line block ×3, first 2 shown]
	s_add_nc_u64 s[34:35], s[26:27], s[20:21]
	s_mul_u64 s[26:27], s[2:3], s[68:69]
	s_mul_u64 s[36:37], s[16:17], s[66:67]
	s_add_nc_u64 s[26:27], s[28:29], s[26:27]
	s_mul_u64 s[28:29], s[8:9], s[70:71]
	s_add_nc_u64 s[26:27], s[26:27], s[36:37]
	;; [unrolled: 2-line block ×6, first 2 shown]
	s_lshr_b64 s[14:15], s[14:15], 26
	s_add_nc_u64 s[26:27], s[26:27], s[28:29]
	s_mul_u64 s[28:29], s[6:7], s[74:75]
	s_add_nc_u64 s[14:15], s[26:27], s[14:15]
	s_mul_u64 s[26:27], s[18:19], s[78:79]
	s_lshl_b64 s[4:5], s[4:5], 10
	s_add_nc_u64 s[26:27], s[26:27], s[28:29]
	s_lshr_b64 s[20:21], s[34:35], 26
	s_and_b32 s36, s14, 0x3ffffff
	s_mov_b32 s37, s19
	s_add_nc_u64 s[4:5], s[26:27], s[4:5]
	s_mul_u64 s[26:27], s[36:37], 0x3d10
	s_add_nc_u64 s[4:5], s[4:5], s[20:21]
	s_mul_u64 s[28:29], s[10:11], s[68:69]
	;; [unrolled: 2-line block ×3, first 2 shown]
	s_lshl_b64 s[4:5], s[36:37], 10
	s_mul_u64 s[36:37], s[16:17], s[80:81]
	s_add_nc_u64 s[26:27], s[28:29], s[26:27]
	s_mul_u64 s[28:29], s[8:9], s[66:67]
	s_add_nc_u64 s[26:27], s[26:27], s[36:37]
	;; [unrolled: 2-line block ×5, first 2 shown]
	s_lshr_b64 s[14:15], s[14:15], 26
	s_mul_u64 s[28:29], s[6:7], s[62:63]
	s_add_nc_u64 s[26:27], s[26:27], s[36:37]
	s_mul_u64 s[36:37], s[18:19], s[74:75]
	s_add_nc_u64 s[14:15], s[26:27], s[14:15]
	;; [unrolled: 2-line block ×3, first 2 shown]
	s_and_b32 s40, s14, 0x3ffffff
	s_mov_b32 s41, s19
	s_add_nc_u64 s[26:27], s[28:29], s[26:27]
	s_mul_u64 s[28:29], s[40:41], 0x3d10
	s_add_nc_u64 s[4:5], s[26:27], s[4:5]
	s_lshr_b64 s[26:27], s[20:21], 26
	s_add_nc_u64 s[4:5], s[4:5], s[28:29]
	s_mul_u64 s[36:37], s[10:11], s[64:65]
	s_add_nc_u64 s[38:39], s[4:5], s[26:27]
	s_lshl_b64 s[4:5], s[40:41], 10
	s_mul_u64 s[40:41], s[16:17], s[68:69]
	s_mul_u64 s[42:43], s[8:9], s[80:81]
	s_add_nc_u64 s[36:37], s[40:41], s[36:37]
	s_mul_u64 s[40:41], s[0:1], s[66:67]
	s_add_nc_u64 s[36:37], s[36:37], s[42:43]
	;; [unrolled: 2-line block ×5, first 2 shown]
	s_mul_u64 s[40:41], s[2:3], s[78:79]
	s_lshr_b64 s[14:15], s[14:15], 26
	s_mul_u64 s[28:29], s[18:19], s[62:63]
	s_add_nc_u64 s[26:27], s[26:27], s[40:41]
	s_mul_u64 s[44:45], s[16:17], s[64:65]
	s_mul_u64 s[48:49], s[8:9], s[68:69]
	;; [unrolled: 1-line block ×3, first 2 shown]
	s_add_nc_u64 s[14:15], s[36:37], s[14:15]
	s_add_nc_u64 s[26:27], s[26:27], s[28:29]
	s_mul_u64 s[50:51], s[0:1], s[80:81]
	s_add_nc_u64 s[44:45], s[48:49], s[44:45]
	s_and_b32 s36, s14, 0x3ffffff
	s_mov_b32 s37, s19
	s_add_nc_u64 s[26:27], s[26:27], s[42:43]
	s_mul_u64 s[48:49], s[12:13], s[66:67]
	s_add_nc_u64 s[44:45], s[44:45], s[50:51]
	s_mul_u64 s[28:29], s[36:37], 0x3d10
	;; [unrolled: 2-line block ×4, first 2 shown]
	s_lshr_b64 s[26:27], s[38:39], 26
	s_add_nc_u64 s[4:5], s[4:5], s[28:29]
	s_mul_u64 s[28:29], s[6:7], s[72:73]
	s_mul_u64 s[50:51], s[24:25], s[70:71]
	s_add_nc_u64 s[42:43], s[48:49], s[42:43]
	s_lshr_b64 s[14:15], s[14:15], 26
	s_add_nc_u64 s[4:5], s[4:5], s[26:27]
	s_lshl_b64 s[26:27], s[36:37], 10
	s_mul_u64 s[36:37], s[18:19], s[76:77]
	s_add_nc_u64 s[44:45], s[44:45], s[50:51]
	s_add_nc_u64 s[28:29], s[42:43], s[28:29]
	s_mul_u64 s[40:41], s[22:23], s[62:63]
	s_add_nc_u64 s[14:15], s[44:45], s[14:15]
	s_add_nc_u64 s[28:29], s[28:29], s[36:37]
	s_and_b32 s42, s14, 0x3ffffff
	s_mov_b32 s43, s19
	s_add_nc_u64 s[28:29], s[28:29], s[40:41]
	s_mul_u64 s[36:37], s[42:43], 0x3d10
	s_add_nc_u64 s[26:27], s[28:29], s[26:27]
	s_mul_u64 s[44:45], s[2:3], s[62:63]
	s_mul_u64 s[48:49], s[10:11], s[74:75]
	;; [unrolled: 1-line block ×4, first 2 shown]
	s_lshr_b64 s[28:29], s[4:5], 26
	s_add_nc_u64 s[26:27], s[26:27], s[36:37]
	s_mul_u64 s[50:51], s[16:17], s[78:79]
	s_mul_u64 s[56:57], s[12:13], s[80:81]
	s_add_nc_u64 s[52:53], s[54:55], s[52:53]
	s_add_nc_u64 s[44:45], s[48:49], s[44:45]
	s_lshr_b64 s[36:37], s[14:15], 26
	s_add_nc_u64 s[14:15], s[26:27], s[28:29]
	s_mul_u64 s[28:29], s[6:7], s[70:71]
	s_mul_u64 s[54:55], s[24:25], s[66:67]
	s_add_nc_u64 s[52:53], s[52:53], s[56:57]
	s_add_nc_u64 s[44:45], s[44:45], s[50:51]
	s_mul_u64 s[40:41], s[18:19], s[72:73]
	s_add_nc_u64 s[48:49], s[52:53], s[54:55]
	s_add_nc_u64 s[28:29], s[44:45], s[28:29]
	s_lshl_b64 s[26:27], s[42:43], 10
	s_mul_u64 s[42:43], s[22:23], s[76:77]
	s_add_nc_u64 s[36:37], s[48:49], s[36:37]
	s_add_nc_u64 s[28:29], s[28:29], s[40:41]
	s_and_b32 s44, s36, 0x3ffffff
	s_mov_b32 s45, s19
	s_add_nc_u64 s[28:29], s[28:29], s[42:43]
	s_mul_u64 s[48:49], s[2:3], s[76:77]
	s_mul_u64 s[50:51], s[10:11], s[62:63]
	;; [unrolled: 1-line block ×3, first 2 shown]
	s_add_nc_u64 s[26:27], s[28:29], s[26:27]
	s_mul_u64 s[52:53], s[16:17], s[74:75]
	s_mul_u64 s[56:57], s[0:1], s[64:65]
	;; [unrolled: 1-line block ×3, first 2 shown]
	s_add_nc_u64 s[48:49], s[50:51], s[48:49]
	s_lshr_b64 s[28:29], s[14:15], 26
	s_add_nc_u64 s[26:27], s[26:27], s[40:41]
	s_mul_u64 s[54:55], s[8:9], s[78:79]
	s_mul_u64 s[60:61], s[24:25], s[80:81]
	s_add_nc_u64 s[50:51], s[58:59], s[56:57]
	s_add_nc_u64 s[48:49], s[48:49], s[52:53]
	s_lshr_b64 s[40:41], s[36:37], 26
	s_add_nc_u64 s[36:37], s[26:27], s[28:29]
	s_mul_u64 s[28:29], s[6:7], s[66:67]
	s_add_nc_u64 s[50:51], s[50:51], s[60:61]
	s_add_nc_u64 s[48:49], s[48:49], s[54:55]
	s_mul_u64 s[42:43], s[18:19], s[70:71]
	s_add_nc_u64 s[40:41], s[50:51], s[40:41]
	s_add_nc_u64 s[28:29], s[48:49], s[28:29]
	s_mul_u64 s[50:51], s[2:3], s[72:73]
	s_mul_u64 s[52:53], s[10:11], s[76:77]
	s_lshl_b64 s[26:27], s[44:45], 10
	s_mul_u64 s[44:45], s[22:23], s[72:73]
	s_add_nc_u64 s[28:29], s[28:29], s[42:43]
	s_mul_u64 s[54:55], s[16:17], s[62:63]
	s_add_nc_u64 s[50:51], s[52:53], s[50:51]
	s_and_b32 s48, s40, 0x3ffffff
	s_mov_b32 s49, s19
	s_add_nc_u64 s[28:29], s[28:29], s[44:45]
	s_mul_u64 s[56:57], s[8:9], s[74:75]
	s_add_nc_u64 s[50:51], s[50:51], s[54:55]
	s_mul_u64 s[42:43], s[48:49], 0x3d10
	;; [unrolled: 2-line block ×4, first 2 shown]
	s_mul_u64 s[10:11], s[10:11], s[72:73]
	s_add_nc_u64 s[26:27], s[26:27], s[42:43]
	s_mul_u64 s[42:43], s[6:7], s[80:81]
	s_mul_u64 s[52:53], s[12:13], s[64:65]
	;; [unrolled: 1-line block ×3, first 2 shown]
	s_add_nc_u64 s[50:51], s[50:51], s[58:59]
	s_mul_u64 s[16:17], s[16:17], s[76:77]
	s_add_nc_u64 s[2:3], s[10:11], s[2:3]
	s_lshr_b64 s[28:29], s[36:37], 26
	s_lshr_b64 s[40:41], s[40:41], 26
	s_mul_u64 s[44:45], s[18:19], s[66:67]
	s_add_nc_u64 s[52:53], s[54:55], s[52:53]
	s_add_nc_u64 s[42:43], s[50:51], s[42:43]
	s_mul_u64 s[8:9], s[8:9], s[62:63]
	s_add_nc_u64 s[2:3], s[2:3], s[16:17]
	s_add_nc_u64 s[28:29], s[26:27], s[28:29]
	s_lshl_b64 s[26:27], s[48:49], 10
	s_mul_u64 s[48:49], s[22:23], s[70:71]
	s_add_nc_u64 s[40:41], s[52:53], s[40:41]
	s_add_nc_u64 s[42:43], s[42:43], s[44:45]
	s_mul_u64 s[0:1], s[0:1], s[74:75]
	s_add_nc_u64 s[2:3], s[2:3], s[8:9]
	s_and_b32 s50, s40, 0x3ffffff
	s_mov_b32 s51, s19
	s_add_nc_u64 s[42:43], s[42:43], s[48:49]
	s_mul_u64 s[8:9], s[12:13], s[78:79]
	s_add_nc_u64 s[0:1], s[2:3], s[0:1]
	s_mul_u64 s[44:45], s[50:51], 0x3d10
	;; [unrolled: 2-line block ×3, first 2 shown]
	s_add_nc_u64 s[0:1], s[0:1], s[8:9]
	s_add_nc_u64 s[26:27], s[26:27], s[44:45]
	s_lshr_b64 s[40:41], s[40:41], 26
	s_mul_u64 s[44:45], s[18:19], s[80:81]
	s_mul_u64 s[8:9], s[24:25], s[64:65]
	s_add_nc_u64 s[0:1], s[0:1], s[6:7]
	s_lshr_b64 s[42:43], s[28:29], 26
	s_mul_u64 s[2:3], s[22:23], s[66:67]
	s_add_nc_u64 s[6:7], s[40:41], s[8:9]
	s_add_nc_u64 s[0:1], s[0:1], s[44:45]
	;; [unrolled: 1-line block ×3, first 2 shown]
	s_lshl_b64 s[42:43], s[50:51], 10
	s_and_b32 s18, s6, 0x3ffffff
	s_add_nc_u64 s[0:1], s[0:1], s[2:3]
	s_mul_u64 s[2:3], s[18:19], 0x3d10
	s_add_nc_u64 s[0:1], s[0:1], s[42:43]
	s_lshr_b64 s[8:9], s[26:27], 26
	s_add_nc_u64 s[0:1], s[0:1], s[2:3]
	s_lshr_b64 s[2:3], s[6:7], 26
	s_mov_b32 s31, s19
	s_add_nc_u64 s[12:13], s[0:1], s[8:9]
	s_mul_u64 s[0:1], s[2:3], 0x3d10
	s_lshl_b64 s[6:7], s[18:19], 10
	s_add_nc_u64 s[0:1], s[0:1], s[30:31]
	s_lshr_b64 s[8:9], s[12:13], 26
	s_add_nc_u64 s[0:1], s[0:1], s[6:7]
	s_lshl_b64 s[2:3], s[2:3], 14
	s_add_nc_u64 s[24:25], s[0:1], s[8:9]
	s_and_b32 s0, s34, 0x3ffffff
	s_lshr_b64 s[6:7], s[24:25], 22
	s_mov_b32 s1, s19
	s_add_nc_u64 s[2:3], s[6:7], s[2:3]
	s_and_b32 s6, s20, 0x3ffffff
	s_mul_u64 s[8:9], s[2:3], 0x3d1
	s_mov_b32 s7, s19
	s_add_nc_u64 s[30:31], s[8:9], s[0:1]
	s_lshl_b64 s[0:1], s[2:3], 6
	s_lshr_b64 s[2:3], s[30:31], 26
	s_add_nc_u64 s[0:1], s[0:1], s[6:7]
	s_and_b32 s6, s38, 0x3ffffff
	s_add_nc_u64 s[20:21], s[0:1], s[2:3]
	s_mov_b32 s33, 5
	s_lshr_b64 s[0:1], s[20:21], 26
	s_delay_alu instid0(SALU_CYCLE_1)
	s_add_nc_u64 s[22:23], s[0:1], s[6:7]
.LBB0_23:                               ; =>This Inner Loop Header: Depth=1
	s_and_b64 s[0:1], s[24:25], 0x3fffff
	s_lshl_b32 s24, s20, 1
	s_lshl_b32 s34, s4, 1
	;; [unrolled: 1-line block ×5, first 2 shown]
	s_mov_b32 s39, s19
	s_mov_b32 s15, s19
	s_and_b32 s10, s28, 0x3ffffff
	s_mov_b32 s11, s19
	s_mov_b32 s25, s19
	s_and_b32 s16, s36, 0x3ffffff
	s_mov_b32 s17, s19
	s_and_b64 s[50:51], s[30:31], 0x3ffffff
	s_and_b32 s30, s20, 0x3ffffff
	s_lshl_b32 s20, s36, 1
	s_and_b32 s52, s4, 0x3ffffff
	s_mov_b32 s53, s19
	s_and_b32 s48, s14, 0x3ffffff
	s_mov_b32 s49, s19
	s_and_b32 s4, s24, 0x7fffffe
	s_and_b32 s14, s34, 0x7fffffe
	;; [unrolled: 1-line block ×4, first 2 shown]
	s_mov_b32 s9, s19
	s_mov_b32 s29, s19
	s_lshl_b32 s36, s28, 1
	s_and_b32 s28, s20, 0x7fffffe
	s_mul_u64 s[78:79], s[48:49], s[38:39]
	s_mul_u64 s[80:81], s[52:53], s[52:53]
	;; [unrolled: 1-line block ×4, first 2 shown]
	s_mov_b32 s31, s19
	s_and_b32 s18, s6, 0x7fffffe
	s_mul_u64 s[66:67], s[16:17], s[16:17]
	s_mul_u64 s[94:95], s[10:11], s[24:25]
	s_add_nc_u64 s[78:79], s[78:79], s[80:81]
	s_mul_u64 s[80:81], s[8:9], s[24:25]
	s_add_nc_u64 s[90:91], s[90:91], s[92:93]
	s_mul_u64 s[92:93], s[28:29], s[10:11]
	s_and_b32 s2, s12, 0x3ffffff
	s_mov_b32 s3, s19
	s_mov_b32 s55, s19
	s_mul_u64 s[70:71], s[30:31], s[30:31]
	s_mul_u64 s[72:73], s[10:11], s[10:11]
	s_and_b32 s54, s36, 0x7fffffe
	s_add_nc_u64 s[94:95], s[94:95], s[66:67]
	s_mul_u64 s[66:67], s[8:9], s[28:29]
	s_add_nc_u64 s[80:81], s[80:81], s[92:93]
	s_mul_u64 s[92:93], s[18:19], s[22:23]
	s_mov_b32 s5, s19
	s_add_nc_u64 s[72:73], s[66:67], s[72:73]
	s_mul_u64 s[66:67], s[2:3], s[28:29]
	s_add_nc_u64 s[70:71], s[92:93], s[70:71]
	s_mul_u64 s[92:93], s[54:55], s[8:9]
	s_mul_u64 s[56:57], s[22:23], s[22:23]
	s_lshl_b32 s26, s26, 1
	s_add_nc_u64 s[92:93], s[66:67], s[92:93]
	s_mul_u64 s[66:67], s[52:53], s[18:19]
	s_mul_u64 s[22:23], s[4:5], s[22:23]
	s_mov_b32 s63, s19
	s_mul_u64 s[74:75], s[8:9], s[8:9]
	s_and_b32 s62, s26, 0x7fffffe
	s_add_nc_u64 s[66:67], s[66:67], s[22:23]
	s_mul_u64 s[22:23], s[2:3], s[54:55]
	s_mul_u64 s[76:77], s[38:39], s[52:53]
	;; [unrolled: 1-line block ×4, first 2 shown]
	s_add_nc_u64 s[74:75], s[22:23], s[74:75]
	s_mul_u64 s[22:23], s[62:63], s[2:3]
	s_add_nc_u64 s[56:57], s[52:53], s[56:57]
	s_add_nc_u64 s[52:53], s[54:55], s[22:23]
	s_mul_u64 s[22:23], s[48:49], s[4:5]
	s_mul_u64 s[68:69], s[8:9], s[38:39]
	;; [unrolled: 1-line block ×4, first 2 shown]
	s_add_nc_u64 s[62:63], s[22:23], s[76:77]
	s_mul_u64 s[76:77], s[16:17], s[4:5]
	s_lshl_b32 s12, s12, 1
	s_mul_u64 s[84:85], s[16:17], s[38:39]
	s_mul_u64 s[88:89], s[48:49], s[48:49]
	s_add_nc_u64 s[22:23], s[54:55], s[82:83]
	s_mul_u64 s[54:55], s[14:15], s[48:49]
	s_add_nc_u64 s[76:77], s[78:79], s[76:77]
	;; [unrolled: 2-line block ×3, first 2 shown]
	s_mul_u64 s[90:91], s[2:3], s[14:15]
	s_mov_b32 s65, s19
	s_and_b32 s64, s12, 0x7fffffe
	s_mul_u64 s[86:87], s[10:11], s[38:39]
	s_add_nc_u64 s[54:55], s[84:85], s[54:55]
	s_mul_u64 s[82:83], s[2:3], s[4:5]
	s_add_nc_u64 s[78:79], s[78:79], s[88:89]
	s_mul_u64 s[88:89], s[8:9], s[14:15]
	s_mul_u64 s[16:17], s[16:17], s[18:19]
	s_add_nc_u64 s[80:81], s[80:81], s[90:91]
	s_mul_u64 s[90:91], s[10:11], s[18:19]
	s_mul_u64 s[10:11], s[10:11], s[4:5]
	;; [unrolled: 1-line block ×7, first 2 shown]
	s_add_nc_u64 s[88:89], s[94:95], s[88:89]
	s_mul_u64 s[14:15], s[0:1], s[14:15]
	s_mul_u64 s[28:29], s[0:1], s[28:29]
	;; [unrolled: 1-line block ×7, first 2 shown]
	s_add_nc_u64 s[16:17], s[62:63], s[16:17]
	s_add_nc_u64 s[10:11], s[54:55], s[10:11]
	;; [unrolled: 1-line block ×4, first 2 shown]
	s_mul_u64 s[2:3], s[2:3], s[18:19]
	s_add_nc_u64 s[24:25], s[72:73], s[24:25]
	s_add_nc_u64 s[58:59], s[88:89], s[58:59]
	;; [unrolled: 1-line block ×8, first 2 shown]
	s_lshr_b64 s[4:5], s[10:11], 26
	s_mov_b32 s13, s19
	s_add_nc_u64 s[4:5], s[24:25], s[4:5]
	s_add_nc_u64 s[60:61], s[80:81], s[60:61]
	s_and_b32 s12, s4, 0x3ffffff
	s_lshr_b64 s[4:5], s[4:5], 26
	s_mul_u64 s[50:51], s[50:51], s[50:51]
	s_mul_u64 s[24:25], s[12:13], 0x3d10
	s_add_nc_u64 s[4:5], s[60:61], s[4:5]
	s_mul_u64 s[30:31], s[18:19], s[30:31]
	s_lshl_b64 s[12:13], s[12:13], 10
	s_add_nc_u64 s[50:51], s[24:25], s[50:51]
	s_and_b32 s26, s4, 0x3ffffff
	s_lshr_b64 s[4:5], s[4:5], 26
	s_mov_b32 s27, s19
	s_add_nc_u64 s[12:13], s[12:13], s[30:31]
	s_lshr_b64 s[24:25], s[50:51], 26
	s_add_nc_u64 s[4:5], s[14:15], s[4:5]
	s_mov_b32 s21, s19
	s_add_nc_u64 s[0:1], s[92:93], s[0:1]
	s_mul_u64 s[30:31], s[26:27], 0x3d10
	s_lshl_b64 s[26:27], s[26:27], 10
	s_add_nc_u64 s[12:13], s[12:13], s[24:25]
	s_and_b32 s20, s4, 0x3ffffff
	s_lshr_b64 s[4:5], s[4:5], 26
	s_add_nc_u64 s[14:15], s[70:71], s[26:27]
	s_add_nc_u64 s[30:31], s[12:13], s[30:31]
	s_mul_u64 s[12:13], s[20:21], 0x3d10
	s_add_nc_u64 s[0:1], s[0:1], s[4:5]
	s_mov_b32 s35, s19
	s_add_nc_u64 s[28:29], s[74:75], s[28:29]
	s_lshl_b64 s[20:21], s[20:21], 10
	s_lshr_b64 s[4:5], s[30:31], 26
	s_add_nc_u64 s[12:13], s[14:15], s[12:13]
	s_and_b32 s34, s0, 0x3ffffff
	s_lshr_b64 s[0:1], s[0:1], 26
	s_mul_u64 s[48:49], s[48:49], s[18:19]
	s_add_nc_u64 s[14:15], s[66:67], s[20:21]
	s_add_nc_u64 s[54:55], s[12:13], s[4:5]
	s_mul_u64 s[4:5], s[34:35], 0x3d10
	s_add_nc_u64 s[0:1], s[28:29], s[0:1]
	s_mov_b32 s37, s19
	s_add_nc_u64 s[48:49], s[56:57], s[48:49]
	s_lshl_b64 s[12:13], s[34:35], 10
	s_lshr_b64 s[20:21], s[54:55], 26
	s_add_nc_u64 s[4:5], s[14:15], s[4:5]
	s_and_b32 s36, s0, 0x3ffffff
	s_lshr_b64 s[0:1], s[0:1], 26
	s_add_nc_u64 s[12:13], s[48:49], s[12:13]
	s_add_nc_u64 s[4:5], s[4:5], s[20:21]
	s_mul_u64 s[14:15], s[36:37], 0x3d10
	s_add_nc_u64 s[0:1], s[52:53], s[0:1]
	s_mov_b32 s41, s19
	s_lshl_b64 s[20:21], s[36:37], 10
	s_lshr_b64 s[24:25], s[4:5], 26
	s_add_nc_u64 s[12:13], s[12:13], s[14:15]
	s_and_b32 s40, s0, 0x3ffffff
	s_lshr_b64 s[0:1], s[0:1], 26
	s_add_nc_u64 s[16:17], s[16:17], s[20:21]
	s_add_nc_u64 s[14:15], s[12:13], s[24:25]
	s_mul_u64 s[12:13], s[40:41], 0x3d10
	s_add_nc_u64 s[0:1], s[22:23], s[0:1]
	s_mov_b32 s43, s19
	s_add_nc_u64 s[56:57], s[76:77], s[90:91]
	s_lshl_b64 s[20:21], s[40:41], 10
	s_lshr_b64 s[22:23], s[14:15], 26
	s_add_nc_u64 s[12:13], s[16:17], s[12:13]
	s_and_b32 s42, s0, 0x3ffffff
	s_lshr_b64 s[0:1], s[0:1], 26
	s_add_nc_u64 s[16:17], s[56:57], s[20:21]
	s_add_nc_u64 s[36:37], s[12:13], s[22:23]
	s_mul_u64 s[12:13], s[42:43], 0x3d10
	s_add_nc_u64 s[0:1], s[0:1], s[64:65]
	s_mov_b32 s45, s19
	s_lshl_b64 s[20:21], s[42:43], 10
	s_lshr_b64 s[22:23], s[36:37], 26
	s_add_nc_u64 s[12:13], s[16:17], s[12:13]
	s_and_b32 s44, s0, 0x3ffffff
	s_lshr_b64 s[0:1], s[0:1], 26
	s_add_nc_u64 s[8:9], s[8:9], s[20:21]
	s_add_nc_u64 s[28:29], s[12:13], s[22:23]
	s_mul_u64 s[12:13], s[44:45], 0x3d10
	s_add_nc_u64 s[0:1], s[0:1], s[38:39]
	s_lshl_b64 s[16:17], s[44:45], 10
	s_lshr_b64 s[20:21], s[28:29], 26
	s_add_nc_u64 s[8:9], s[8:9], s[12:13]
	s_and_b32 s18, s0, 0x3ffffff
	s_lshr_b64 s[0:1], s[0:1], 26
	s_add_nc_u64 s[2:3], s[2:3], s[16:17]
	s_add_nc_u64 s[26:27], s[8:9], s[20:21]
	s_mul_u64 s[8:9], s[18:19], 0x3d10
	s_and_b64 s[10:11], s[10:11], 0x3fffffe
	s_mul_u64 s[12:13], s[0:1], 0x3d10
	s_lshr_b64 s[20:21], s[26:27], 26
	s_add_nc_u64 s[2:3], s[2:3], s[8:9]
	s_lshl_b64 s[16:17], s[18:19], 10
	s_add_nc_u64 s[8:9], s[12:13], s[10:11]
	s_add_nc_u64 s[12:13], s[2:3], s[20:21]
	s_add_nc_u64 s[2:3], s[8:9], s[16:17]
	s_lshr_b64 s[8:9], s[12:13], 26
	s_lshl_b64 s[0:1], s[0:1], 14
	s_add_nc_u64 s[24:25], s[2:3], s[8:9]
	s_and_b64 s[8:9], s[50:51], 0x3fffffd
	s_lshr_b64 s[2:3], s[24:25], 22
	s_mov_b32 s7, s19
	s_add_nc_u64 s[0:1], s[2:3], s[0:1]
	s_and_b32 s6, s30, 0x3ffffff
	s_mul_u64 s[2:3], s[0:1], 0x3d1
	s_lshl_b64 s[0:1], s[0:1], 6
	s_add_nc_u64 s[30:31], s[2:3], s[8:9]
	s_add_nc_u64 s[0:1], s[0:1], s[6:7]
	s_lshr_b64 s[2:3], s[30:31], 26
	s_mov_b32 s11, s19
	s_add_nc_u64 s[20:21], s[0:1], s[2:3]
	s_add_co_i32 s33, s33, -1
	s_and_b32 s10, s54, 0x3ffffff
	s_lshr_b64 s[0:1], s[20:21], 26
	s_cmp_lg_u32 s33, 0
	s_add_nc_u64 s[22:23], s[0:1], s[10:11]
	s_cbranch_scc1 .LBB0_23
; %bb.24:
	v_readlane_b32 s72, v18, 8
	v_readlane_b32 s70, v19, 28
	;; [unrolled: 1-line block ×4, first 2 shown]
	s_mov_b32 s19, 0
	v_readlane_b32 s66, v19, 30
	v_readlane_b32 s67, v19, 31
	s_and_b32 s2, s4, 0x3ffffff
	s_mov_b32 s3, s19
	s_and_b32 s10, s14, 0x3ffffff
	s_mov_b32 s11, s19
	s_and_b64 s[6:7], s[30:31], 0x3ffffff
	s_mul_u64 s[30:31], s[2:3], s[72:73]
	s_and_b32 s16, s36, 0x3ffffff
	s_mov_b32 s17, s19
	s_mul_u64 s[14:15], s[10:11], s[70:71]
	v_readlane_b32 s64, v18, 2
	v_readlane_b32 s65, v18, 3
	s_mul_u64 s[34:35], s[16:17], s[66:67]
	s_and_b32 s8, s28, 0x3ffffff
	s_mov_b32 s9, s19
	s_add_nc_u64 s[14:15], s[14:15], s[30:31]
	v_readlane_b32 s62, v18, 4
	v_readlane_b32 s63, v18, 5
	s_and_b32 s0, s26, 0x3ffffff
	s_mov_b32 s1, s19
	s_mul_u64 s[26:27], s[8:9], s[102:103]
	s_add_nc_u64 s[14:15], s[14:15], s[34:35]
	s_mul_u64 s[28:29], s[0:1], s[64:65]
	s_and_b32 s12, s12, 0x3ffffff
	s_mov_b32 s13, s19
	s_add_nc_u64 s[14:15], s[14:15], s[26:27]
	s_mul_u64 s[30:31], s[12:13], s[62:63]
	s_and_b64 s[24:25], s[24:25], 0x3fffff
	s_add_nc_u64 s[14:15], s[14:15], s[28:29]
	v_readlane_b32 s74, v19, 24
	v_readlane_b32 s75, v19, 25
	s_mul_u64 s[26:27], s[24:25], s[100:101]
	s_add_nc_u64 s[14:15], s[14:15], s[30:31]
	v_readlane_b32 s68, v19, 26
	v_readlane_b32 s69, v19, 27
	s_mul_u64 s[4:5], s[6:7], s[98:99]
	s_and_b32 s18, s20, 0x3ffffff
	s_add_nc_u64 s[14:15], s[14:15], s[26:27]
	s_mul_u64 s[20:21], s[18:19], s[74:75]
	s_add_nc_u64 s[4:5], s[14:15], s[4:5]
	s_mul_u64 s[14:15], s[22:23], s[68:69]
	;; [unrolled: 2-line block ×4, first 2 shown]
	s_mul_u64 s[26:27], s[16:17], s[70:71]
	s_add_nc_u64 s[14:15], s[20:21], s[14:15]
	s_mul_u64 s[20:21], s[8:9], s[66:67]
	s_add_nc_u64 s[14:15], s[14:15], s[26:27]
	;; [unrolled: 2-line block ×7, first 2 shown]
	s_lshr_b64 s[20:21], s[4:5], 26
	s_add_nc_u64 s[14:15], s[14:15], s[26:27]
	s_and_b32 s30, s4, 0x3ffffff
	s_add_nc_u64 s[14:15], s[14:15], s[20:21]
	s_mov_b32 s5, s19
	s_and_b32 s4, s14, 0x3ffffff
	s_mul_u64 s[20:21], s[6:7], s[100:101]
	s_mul_u64 s[26:27], s[4:5], 0x3d10
	;; [unrolled: 1-line block ×3, first 2 shown]
	s_add_nc_u64 s[34:35], s[26:27], s[20:21]
	s_mul_u64 s[26:27], s[2:3], s[74:75]
	s_mul_u64 s[36:37], s[16:17], s[72:73]
	s_add_nc_u64 s[26:27], s[28:29], s[26:27]
	s_mul_u64 s[28:29], s[8:9], s[70:71]
	s_add_nc_u64 s[26:27], s[26:27], s[36:37]
	;; [unrolled: 2-line block ×6, first 2 shown]
	s_lshr_b64 s[14:15], s[14:15], 26
	s_add_nc_u64 s[26:27], s[26:27], s[28:29]
	s_mul_u64 s[28:29], s[6:7], s[62:63]
	s_add_nc_u64 s[14:15], s[26:27], s[14:15]
	s_mul_u64 s[26:27], s[18:19], s[100:101]
	s_lshl_b64 s[4:5], s[4:5], 10
	s_add_nc_u64 s[26:27], s[26:27], s[28:29]
	s_lshr_b64 s[20:21], s[34:35], 26
	s_and_b32 s36, s14, 0x3ffffff
	s_mov_b32 s37, s19
	s_add_nc_u64 s[4:5], s[26:27], s[4:5]
	s_mul_u64 s[26:27], s[36:37], 0x3d10
	s_add_nc_u64 s[4:5], s[4:5], s[20:21]
	s_mul_u64 s[28:29], s[10:11], s[74:75]
	;; [unrolled: 2-line block ×3, first 2 shown]
	s_lshl_b64 s[4:5], s[36:37], 10
	s_mul_u64 s[36:37], s[16:17], s[68:69]
	s_add_nc_u64 s[26:27], s[28:29], s[26:27]
	s_mul_u64 s[28:29], s[8:9], s[72:73]
	s_add_nc_u64 s[26:27], s[26:27], s[36:37]
	;; [unrolled: 2-line block ×5, first 2 shown]
	s_lshr_b64 s[14:15], s[14:15], 26
	s_mul_u64 s[28:29], s[6:7], s[64:65]
	s_add_nc_u64 s[26:27], s[26:27], s[36:37]
	s_mul_u64 s[36:37], s[18:19], s[62:63]
	s_add_nc_u64 s[14:15], s[26:27], s[14:15]
	s_mul_u64 s[26:27], s[22:23], s[100:101]
	s_add_nc_u64 s[28:29], s[36:37], s[28:29]
	s_and_b32 s40, s14, 0x3ffffff
	s_mov_b32 s41, s19
	s_add_nc_u64 s[26:27], s[28:29], s[26:27]
	s_mul_u64 s[28:29], s[40:41], 0x3d10
	s_add_nc_u64 s[4:5], s[26:27], s[4:5]
	s_lshr_b64 s[26:27], s[20:21], 26
	s_add_nc_u64 s[4:5], s[4:5], s[28:29]
	s_mul_u64 s[36:37], s[10:11], s[98:99]
	s_add_nc_u64 s[38:39], s[4:5], s[26:27]
	s_lshl_b64 s[4:5], s[40:41], 10
	s_mul_u64 s[40:41], s[16:17], s[74:75]
	s_mul_u64 s[42:43], s[8:9], s[68:69]
	s_add_nc_u64 s[36:37], s[40:41], s[36:37]
	s_mul_u64 s[40:41], s[0:1], s[72:73]
	s_add_nc_u64 s[36:37], s[36:37], s[42:43]
	;; [unrolled: 2-line block ×5, first 2 shown]
	s_mul_u64 s[40:41], s[2:3], s[100:101]
	s_lshr_b64 s[14:15], s[14:15], 26
	s_mul_u64 s[28:29], s[18:19], s[64:65]
	s_add_nc_u64 s[26:27], s[26:27], s[40:41]
	s_mul_u64 s[44:45], s[16:17], s[98:99]
	s_mul_u64 s[48:49], s[8:9], s[74:75]
	;; [unrolled: 1-line block ×3, first 2 shown]
	s_add_nc_u64 s[14:15], s[36:37], s[14:15]
	s_add_nc_u64 s[26:27], s[26:27], s[28:29]
	s_mul_u64 s[50:51], s[0:1], s[68:69]
	s_add_nc_u64 s[44:45], s[48:49], s[44:45]
	s_and_b32 s36, s14, 0x3ffffff
	s_mov_b32 s37, s19
	s_add_nc_u64 s[26:27], s[26:27], s[42:43]
	s_mul_u64 s[48:49], s[12:13], s[72:73]
	s_add_nc_u64 s[44:45], s[44:45], s[50:51]
	s_mul_u64 s[28:29], s[36:37], 0x3d10
	;; [unrolled: 2-line block ×4, first 2 shown]
	s_lshr_b64 s[26:27], s[38:39], 26
	s_add_nc_u64 s[4:5], s[4:5], s[28:29]
	s_mul_u64 s[28:29], s[6:7], s[66:67]
	s_mul_u64 s[50:51], s[24:25], s[70:71]
	s_add_nc_u64 s[42:43], s[48:49], s[42:43]
	s_lshr_b64 s[14:15], s[14:15], 26
	s_add_nc_u64 s[4:5], s[4:5], s[26:27]
	s_lshl_b64 s[26:27], s[36:37], 10
	s_mul_u64 s[36:37], s[18:19], s[102:103]
	s_add_nc_u64 s[44:45], s[44:45], s[50:51]
	s_add_nc_u64 s[28:29], s[42:43], s[28:29]
	s_mul_u64 s[40:41], s[22:23], s[64:65]
	s_add_nc_u64 s[14:15], s[44:45], s[14:15]
	s_add_nc_u64 s[28:29], s[28:29], s[36:37]
	s_and_b32 s42, s14, 0x3ffffff
	s_mov_b32 s43, s19
	s_add_nc_u64 s[28:29], s[28:29], s[40:41]
	s_mul_u64 s[36:37], s[42:43], 0x3d10
	s_add_nc_u64 s[26:27], s[28:29], s[26:27]
	s_mul_u64 s[44:45], s[2:3], s[64:65]
	s_mul_u64 s[48:49], s[10:11], s[62:63]
	s_mul_u64 s[52:53], s[8:9], s[98:99]
	s_mul_u64 s[54:55], s[0:1], s[74:75]
	s_lshr_b64 s[28:29], s[4:5], 26
	s_add_nc_u64 s[26:27], s[26:27], s[36:37]
	s_mul_u64 s[50:51], s[16:17], s[100:101]
	s_mul_u64 s[56:57], s[12:13], s[68:69]
	s_add_nc_u64 s[52:53], s[54:55], s[52:53]
	s_add_nc_u64 s[44:45], s[48:49], s[44:45]
	s_lshr_b64 s[36:37], s[14:15], 26
	s_add_nc_u64 s[14:15], s[26:27], s[28:29]
	s_mul_u64 s[28:29], s[6:7], s[70:71]
	s_mul_u64 s[54:55], s[24:25], s[72:73]
	s_add_nc_u64 s[52:53], s[52:53], s[56:57]
	s_add_nc_u64 s[44:45], s[44:45], s[50:51]
	s_mul_u64 s[40:41], s[18:19], s[66:67]
	s_add_nc_u64 s[48:49], s[52:53], s[54:55]
	s_add_nc_u64 s[28:29], s[44:45], s[28:29]
	s_lshl_b64 s[26:27], s[42:43], 10
	s_mul_u64 s[42:43], s[22:23], s[102:103]
	s_add_nc_u64 s[36:37], s[48:49], s[36:37]
	s_add_nc_u64 s[28:29], s[28:29], s[40:41]
	s_and_b32 s44, s36, 0x3ffffff
	s_mov_b32 s45, s19
	s_add_nc_u64 s[28:29], s[28:29], s[42:43]
	s_mul_u64 s[48:49], s[2:3], s[102:103]
	s_mul_u64 s[50:51], s[10:11], s[64:65]
	;; [unrolled: 1-line block ×3, first 2 shown]
	s_add_nc_u64 s[26:27], s[28:29], s[26:27]
	s_mul_u64 s[52:53], s[16:17], s[62:63]
	s_mul_u64 s[56:57], s[0:1], s[98:99]
	;; [unrolled: 1-line block ×3, first 2 shown]
	s_add_nc_u64 s[48:49], s[50:51], s[48:49]
	s_lshr_b64 s[28:29], s[14:15], 26
	s_add_nc_u64 s[26:27], s[26:27], s[40:41]
	s_mul_u64 s[54:55], s[8:9], s[100:101]
	s_mul_u64 s[60:61], s[24:25], s[68:69]
	s_add_nc_u64 s[50:51], s[58:59], s[56:57]
	s_add_nc_u64 s[48:49], s[48:49], s[52:53]
	s_lshr_b64 s[40:41], s[36:37], 26
	s_add_nc_u64 s[36:37], s[26:27], s[28:29]
	s_mul_u64 s[28:29], s[6:7], s[72:73]
	s_add_nc_u64 s[50:51], s[50:51], s[60:61]
	s_add_nc_u64 s[48:49], s[48:49], s[54:55]
	s_mul_u64 s[42:43], s[18:19], s[70:71]
	s_add_nc_u64 s[40:41], s[50:51], s[40:41]
	s_add_nc_u64 s[28:29], s[48:49], s[28:29]
	s_mul_u64 s[50:51], s[2:3], s[66:67]
	s_mul_u64 s[52:53], s[10:11], s[102:103]
	s_lshl_b64 s[26:27], s[44:45], 10
	s_mul_u64 s[44:45], s[22:23], s[66:67]
	s_add_nc_u64 s[28:29], s[28:29], s[42:43]
	s_mul_u64 s[54:55], s[16:17], s[64:65]
	s_add_nc_u64 s[50:51], s[52:53], s[50:51]
	s_and_b32 s48, s40, 0x3ffffff
	s_mov_b32 s49, s19
	s_add_nc_u64 s[28:29], s[28:29], s[44:45]
	s_mul_u64 s[56:57], s[8:9], s[62:63]
	s_add_nc_u64 s[50:51], s[50:51], s[54:55]
	s_mul_u64 s[42:43], s[48:49], 0x3d10
	;; [unrolled: 2-line block ×4, first 2 shown]
	s_mul_u64 s[10:11], s[10:11], s[66:67]
	s_add_nc_u64 s[26:27], s[26:27], s[42:43]
	s_mul_u64 s[42:43], s[6:7], s[68:69]
	s_mul_u64 s[52:53], s[12:13], s[98:99]
	;; [unrolled: 1-line block ×3, first 2 shown]
	s_add_nc_u64 s[50:51], s[50:51], s[58:59]
	s_mul_u64 s[16:17], s[16:17], s[102:103]
	s_add_nc_u64 s[2:3], s[10:11], s[2:3]
	s_lshr_b64 s[28:29], s[36:37], 26
	s_lshr_b64 s[40:41], s[40:41], 26
	s_mul_u64 s[44:45], s[18:19], s[72:73]
	s_add_nc_u64 s[52:53], s[54:55], s[52:53]
	s_add_nc_u64 s[42:43], s[50:51], s[42:43]
	s_mul_u64 s[8:9], s[8:9], s[64:65]
	s_add_nc_u64 s[2:3], s[2:3], s[16:17]
	s_add_nc_u64 s[28:29], s[26:27], s[28:29]
	s_lshl_b64 s[26:27], s[48:49], 10
	s_mul_u64 s[48:49], s[22:23], s[70:71]
	s_add_nc_u64 s[40:41], s[52:53], s[40:41]
	s_add_nc_u64 s[42:43], s[42:43], s[44:45]
	s_mul_u64 s[0:1], s[0:1], s[62:63]
	s_add_nc_u64 s[2:3], s[2:3], s[8:9]
	s_and_b32 s50, s40, 0x3ffffff
	s_mov_b32 s51, s19
	s_add_nc_u64 s[42:43], s[42:43], s[48:49]
	s_mul_u64 s[8:9], s[12:13], s[100:101]
	s_add_nc_u64 s[0:1], s[2:3], s[0:1]
	s_mul_u64 s[44:45], s[50:51], 0x3d10
	;; [unrolled: 2-line block ×3, first 2 shown]
	s_add_nc_u64 s[0:1], s[0:1], s[8:9]
	s_add_nc_u64 s[26:27], s[26:27], s[44:45]
	s_lshr_b64 s[40:41], s[40:41], 26
	s_mul_u64 s[44:45], s[18:19], s[68:69]
	s_mul_u64 s[8:9], s[24:25], s[98:99]
	s_add_nc_u64 s[0:1], s[0:1], s[6:7]
	s_lshr_b64 s[42:43], s[28:29], 26
	s_mul_u64 s[2:3], s[22:23], s[72:73]
	s_add_nc_u64 s[6:7], s[40:41], s[8:9]
	s_add_nc_u64 s[0:1], s[0:1], s[44:45]
	;; [unrolled: 1-line block ×3, first 2 shown]
	s_lshl_b64 s[42:43], s[50:51], 10
	s_and_b32 s18, s6, 0x3ffffff
	s_add_nc_u64 s[0:1], s[0:1], s[2:3]
	s_mul_u64 s[2:3], s[18:19], 0x3d10
	s_add_nc_u64 s[0:1], s[0:1], s[42:43]
	s_lshr_b64 s[8:9], s[26:27], 26
	s_add_nc_u64 s[0:1], s[0:1], s[2:3]
	s_lshr_b64 s[2:3], s[6:7], 26
	s_mov_b32 s31, s19
	s_add_nc_u64 s[12:13], s[0:1], s[8:9]
	s_mul_u64 s[0:1], s[2:3], 0x3d10
	s_lshl_b64 s[6:7], s[18:19], 10
	s_add_nc_u64 s[0:1], s[0:1], s[30:31]
	s_lshr_b64 s[8:9], s[12:13], 26
	s_add_nc_u64 s[0:1], s[0:1], s[6:7]
	s_lshl_b64 s[2:3], s[2:3], 14
	s_add_nc_u64 s[24:25], s[0:1], s[8:9]
	s_and_b32 s0, s34, 0x3ffffff
	s_lshr_b64 s[6:7], s[24:25], 22
	s_mov_b32 s1, s19
	s_add_nc_u64 s[2:3], s[6:7], s[2:3]
	s_and_b32 s6, s20, 0x3ffffff
	s_mul_u64 s[8:9], s[2:3], 0x3d1
	s_mov_b32 s7, s19
	s_add_nc_u64 s[30:31], s[8:9], s[0:1]
	s_lshl_b64 s[0:1], s[2:3], 6
	s_lshr_b64 s[2:3], s[30:31], 26
	s_add_nc_u64 s[0:1], s[0:1], s[6:7]
	s_and_b32 s6, s38, 0x3ffffff
	s_add_nc_u64 s[20:21], s[0:1], s[2:3]
	s_mov_b32 s33, 3
	s_lshr_b64 s[0:1], s[20:21], 26
	s_delay_alu instid0(SALU_CYCLE_1)
	s_add_nc_u64 s[22:23], s[0:1], s[6:7]
.LBB0_25:                               ; =>This Inner Loop Header: Depth=1
	s_and_b64 s[0:1], s[24:25], 0x3fffff
	s_lshl_b32 s24, s20, 1
	s_lshl_b32 s34, s4, 1
	;; [unrolled: 1-line block ×5, first 2 shown]
	s_mov_b32 s39, s19
	s_mov_b32 s15, s19
	s_and_b32 s10, s28, 0x3ffffff
	s_mov_b32 s11, s19
	s_mov_b32 s25, s19
	s_and_b32 s16, s36, 0x3ffffff
	s_mov_b32 s17, s19
	s_and_b64 s[50:51], s[30:31], 0x3ffffff
	s_and_b32 s30, s20, 0x3ffffff
	s_lshl_b32 s20, s36, 1
	s_and_b32 s52, s4, 0x3ffffff
	s_mov_b32 s53, s19
	s_and_b32 s48, s14, 0x3ffffff
	s_mov_b32 s49, s19
	s_and_b32 s4, s24, 0x7fffffe
	s_and_b32 s14, s34, 0x7fffffe
	;; [unrolled: 1-line block ×4, first 2 shown]
	s_mov_b32 s9, s19
	s_mov_b32 s29, s19
	s_lshl_b32 s36, s28, 1
	s_and_b32 s28, s20, 0x7fffffe
	s_mul_u64 s[78:79], s[48:49], s[38:39]
	s_mul_u64 s[80:81], s[52:53], s[52:53]
	;; [unrolled: 1-line block ×4, first 2 shown]
	s_mov_b32 s31, s19
	s_and_b32 s18, s6, 0x7fffffe
	s_mul_u64 s[66:67], s[16:17], s[16:17]
	s_mul_u64 s[94:95], s[10:11], s[24:25]
	s_add_nc_u64 s[78:79], s[78:79], s[80:81]
	s_mul_u64 s[80:81], s[8:9], s[24:25]
	s_add_nc_u64 s[90:91], s[90:91], s[92:93]
	s_mul_u64 s[92:93], s[28:29], s[10:11]
	s_and_b32 s2, s12, 0x3ffffff
	s_mov_b32 s3, s19
	s_mov_b32 s55, s19
	s_mul_u64 s[70:71], s[30:31], s[30:31]
	s_mul_u64 s[72:73], s[10:11], s[10:11]
	s_and_b32 s54, s36, 0x7fffffe
	s_add_nc_u64 s[94:95], s[94:95], s[66:67]
	s_mul_u64 s[66:67], s[8:9], s[28:29]
	s_add_nc_u64 s[80:81], s[80:81], s[92:93]
	s_mul_u64 s[92:93], s[18:19], s[22:23]
	s_mov_b32 s5, s19
	s_add_nc_u64 s[72:73], s[66:67], s[72:73]
	s_mul_u64 s[66:67], s[2:3], s[28:29]
	s_add_nc_u64 s[70:71], s[92:93], s[70:71]
	s_mul_u64 s[92:93], s[54:55], s[8:9]
	s_mul_u64 s[56:57], s[22:23], s[22:23]
	s_lshl_b32 s26, s26, 1
	s_add_nc_u64 s[92:93], s[66:67], s[92:93]
	s_mul_u64 s[66:67], s[52:53], s[18:19]
	s_mul_u64 s[22:23], s[4:5], s[22:23]
	s_mov_b32 s63, s19
	s_mul_u64 s[74:75], s[8:9], s[8:9]
	s_and_b32 s62, s26, 0x7fffffe
	s_add_nc_u64 s[66:67], s[66:67], s[22:23]
	s_mul_u64 s[22:23], s[2:3], s[54:55]
	s_mul_u64 s[76:77], s[38:39], s[52:53]
	;; [unrolled: 1-line block ×4, first 2 shown]
	s_add_nc_u64 s[74:75], s[22:23], s[74:75]
	s_mul_u64 s[22:23], s[62:63], s[2:3]
	s_add_nc_u64 s[56:57], s[52:53], s[56:57]
	s_add_nc_u64 s[52:53], s[54:55], s[22:23]
	s_mul_u64 s[22:23], s[48:49], s[4:5]
	s_mul_u64 s[68:69], s[8:9], s[38:39]
	;; [unrolled: 1-line block ×4, first 2 shown]
	s_add_nc_u64 s[62:63], s[22:23], s[76:77]
	s_mul_u64 s[76:77], s[16:17], s[4:5]
	s_lshl_b32 s12, s12, 1
	s_mul_u64 s[84:85], s[16:17], s[38:39]
	s_mul_u64 s[88:89], s[48:49], s[48:49]
	s_add_nc_u64 s[22:23], s[54:55], s[82:83]
	s_mul_u64 s[54:55], s[14:15], s[48:49]
	s_add_nc_u64 s[76:77], s[78:79], s[76:77]
	s_mul_u64 s[78:79], s[16:17], s[14:15]
	s_add_nc_u64 s[68:69], s[90:91], s[68:69]
	s_mul_u64 s[90:91], s[2:3], s[14:15]
	s_mov_b32 s65, s19
	s_and_b32 s64, s12, 0x7fffffe
	s_mul_u64 s[86:87], s[10:11], s[38:39]
	s_add_nc_u64 s[54:55], s[84:85], s[54:55]
	s_mul_u64 s[82:83], s[2:3], s[4:5]
	s_add_nc_u64 s[78:79], s[78:79], s[88:89]
	s_mul_u64 s[88:89], s[8:9], s[14:15]
	s_mul_u64 s[16:17], s[16:17], s[18:19]
	s_add_nc_u64 s[80:81], s[80:81], s[90:91]
	s_mul_u64 s[90:91], s[10:11], s[18:19]
	s_mul_u64 s[10:11], s[10:11], s[4:5]
	;; [unrolled: 1-line block ×7, first 2 shown]
	s_add_nc_u64 s[88:89], s[94:95], s[88:89]
	s_mul_u64 s[14:15], s[0:1], s[14:15]
	s_mul_u64 s[28:29], s[0:1], s[28:29]
	;; [unrolled: 1-line block ×7, first 2 shown]
	s_add_nc_u64 s[16:17], s[62:63], s[16:17]
	s_add_nc_u64 s[10:11], s[54:55], s[10:11]
	;; [unrolled: 1-line block ×4, first 2 shown]
	s_mul_u64 s[2:3], s[2:3], s[18:19]
	s_add_nc_u64 s[24:25], s[72:73], s[24:25]
	s_add_nc_u64 s[58:59], s[88:89], s[58:59]
	;; [unrolled: 1-line block ×8, first 2 shown]
	s_lshr_b64 s[4:5], s[10:11], 26
	s_mov_b32 s13, s19
	s_add_nc_u64 s[4:5], s[24:25], s[4:5]
	s_add_nc_u64 s[60:61], s[80:81], s[60:61]
	s_and_b32 s12, s4, 0x3ffffff
	s_lshr_b64 s[4:5], s[4:5], 26
	s_mul_u64 s[50:51], s[50:51], s[50:51]
	s_mul_u64 s[24:25], s[12:13], 0x3d10
	s_add_nc_u64 s[4:5], s[60:61], s[4:5]
	s_mul_u64 s[30:31], s[18:19], s[30:31]
	s_lshl_b64 s[12:13], s[12:13], 10
	s_add_nc_u64 s[50:51], s[24:25], s[50:51]
	s_and_b32 s26, s4, 0x3ffffff
	s_lshr_b64 s[4:5], s[4:5], 26
	s_mov_b32 s27, s19
	s_add_nc_u64 s[12:13], s[12:13], s[30:31]
	s_lshr_b64 s[24:25], s[50:51], 26
	s_add_nc_u64 s[4:5], s[14:15], s[4:5]
	s_mov_b32 s21, s19
	s_add_nc_u64 s[0:1], s[92:93], s[0:1]
	s_mul_u64 s[30:31], s[26:27], 0x3d10
	s_lshl_b64 s[26:27], s[26:27], 10
	s_add_nc_u64 s[12:13], s[12:13], s[24:25]
	s_and_b32 s20, s4, 0x3ffffff
	s_lshr_b64 s[4:5], s[4:5], 26
	s_add_nc_u64 s[14:15], s[70:71], s[26:27]
	s_add_nc_u64 s[30:31], s[12:13], s[30:31]
	s_mul_u64 s[12:13], s[20:21], 0x3d10
	s_add_nc_u64 s[0:1], s[0:1], s[4:5]
	s_mov_b32 s35, s19
	s_add_nc_u64 s[28:29], s[74:75], s[28:29]
	s_lshl_b64 s[20:21], s[20:21], 10
	s_lshr_b64 s[4:5], s[30:31], 26
	s_add_nc_u64 s[12:13], s[14:15], s[12:13]
	s_and_b32 s34, s0, 0x3ffffff
	s_lshr_b64 s[0:1], s[0:1], 26
	s_mul_u64 s[48:49], s[48:49], s[18:19]
	s_add_nc_u64 s[14:15], s[66:67], s[20:21]
	s_add_nc_u64 s[54:55], s[12:13], s[4:5]
	s_mul_u64 s[4:5], s[34:35], 0x3d10
	s_add_nc_u64 s[0:1], s[28:29], s[0:1]
	s_mov_b32 s37, s19
	s_add_nc_u64 s[48:49], s[56:57], s[48:49]
	s_lshl_b64 s[12:13], s[34:35], 10
	s_lshr_b64 s[20:21], s[54:55], 26
	s_add_nc_u64 s[4:5], s[14:15], s[4:5]
	s_and_b32 s36, s0, 0x3ffffff
	s_lshr_b64 s[0:1], s[0:1], 26
	s_add_nc_u64 s[12:13], s[48:49], s[12:13]
	s_add_nc_u64 s[4:5], s[4:5], s[20:21]
	s_mul_u64 s[14:15], s[36:37], 0x3d10
	s_add_nc_u64 s[0:1], s[52:53], s[0:1]
	s_mov_b32 s41, s19
	s_lshl_b64 s[20:21], s[36:37], 10
	s_lshr_b64 s[24:25], s[4:5], 26
	s_add_nc_u64 s[12:13], s[12:13], s[14:15]
	s_and_b32 s40, s0, 0x3ffffff
	s_lshr_b64 s[0:1], s[0:1], 26
	s_add_nc_u64 s[16:17], s[16:17], s[20:21]
	s_add_nc_u64 s[14:15], s[12:13], s[24:25]
	s_mul_u64 s[12:13], s[40:41], 0x3d10
	s_add_nc_u64 s[0:1], s[22:23], s[0:1]
	s_mov_b32 s43, s19
	s_add_nc_u64 s[56:57], s[76:77], s[90:91]
	s_lshl_b64 s[20:21], s[40:41], 10
	s_lshr_b64 s[22:23], s[14:15], 26
	s_add_nc_u64 s[12:13], s[16:17], s[12:13]
	s_and_b32 s42, s0, 0x3ffffff
	s_lshr_b64 s[0:1], s[0:1], 26
	s_add_nc_u64 s[16:17], s[56:57], s[20:21]
	s_add_nc_u64 s[36:37], s[12:13], s[22:23]
	s_mul_u64 s[12:13], s[42:43], 0x3d10
	s_add_nc_u64 s[0:1], s[0:1], s[64:65]
	s_mov_b32 s45, s19
	s_lshl_b64 s[20:21], s[42:43], 10
	s_lshr_b64 s[22:23], s[36:37], 26
	s_add_nc_u64 s[12:13], s[16:17], s[12:13]
	s_and_b32 s44, s0, 0x3ffffff
	s_lshr_b64 s[0:1], s[0:1], 26
	s_add_nc_u64 s[8:9], s[8:9], s[20:21]
	s_add_nc_u64 s[28:29], s[12:13], s[22:23]
	s_mul_u64 s[12:13], s[44:45], 0x3d10
	s_add_nc_u64 s[0:1], s[0:1], s[38:39]
	s_lshl_b64 s[16:17], s[44:45], 10
	s_lshr_b64 s[20:21], s[28:29], 26
	s_add_nc_u64 s[8:9], s[8:9], s[12:13]
	s_and_b32 s18, s0, 0x3ffffff
	s_lshr_b64 s[0:1], s[0:1], 26
	s_add_nc_u64 s[2:3], s[2:3], s[16:17]
	s_add_nc_u64 s[26:27], s[8:9], s[20:21]
	s_mul_u64 s[8:9], s[18:19], 0x3d10
	s_and_b64 s[10:11], s[10:11], 0x3fffffe
	s_mul_u64 s[12:13], s[0:1], 0x3d10
	s_lshr_b64 s[20:21], s[26:27], 26
	s_add_nc_u64 s[2:3], s[2:3], s[8:9]
	s_lshl_b64 s[16:17], s[18:19], 10
	s_add_nc_u64 s[8:9], s[12:13], s[10:11]
	s_add_nc_u64 s[12:13], s[2:3], s[20:21]
	;; [unrolled: 1-line block ×3, first 2 shown]
	s_lshr_b64 s[8:9], s[12:13], 26
	s_lshl_b64 s[0:1], s[0:1], 14
	s_add_nc_u64 s[24:25], s[2:3], s[8:9]
	s_and_b64 s[8:9], s[50:51], 0x3fffffd
	s_lshr_b64 s[2:3], s[24:25], 22
	s_mov_b32 s7, s19
	s_add_nc_u64 s[0:1], s[2:3], s[0:1]
	s_and_b32 s6, s30, 0x3ffffff
	s_mul_u64 s[2:3], s[0:1], 0x3d1
	s_lshl_b64 s[0:1], s[0:1], 6
	s_add_nc_u64 s[30:31], s[2:3], s[8:9]
	s_add_nc_u64 s[0:1], s[0:1], s[6:7]
	s_lshr_b64 s[2:3], s[30:31], 26
	s_mov_b32 s11, s19
	s_add_nc_u64 s[20:21], s[0:1], s[2:3]
	s_add_co_i32 s33, s33, -1
	s_and_b32 s10, s54, 0x3ffffff
	s_lshr_b64 s[0:1], s[20:21], 26
	s_cmp_lg_u32 s33, 0
	s_add_nc_u64 s[22:23], s[0:1], s[10:11]
	s_cbranch_scc1 .LBB0_25
; %bb.26:
	v_readlane_b32 s66, v19, 20
	v_readlane_b32 s70, v19, 16
	;; [unrolled: 1-line block ×4, first 2 shown]
	s_mov_b32 s19, 0
	v_readlane_b32 s80, v19, 18
	v_readlane_b32 s81, v19, 19
	s_and_b32 s2, s4, 0x3ffffff
	s_mov_b32 s3, s19
	s_and_b32 s10, s14, 0x3ffffff
	s_mov_b32 s11, s19
	v_readlane_b32 s78, v19, 10
	v_readlane_b32 s79, v19, 11
	s_and_b64 s[6:7], s[30:31], 0x3ffffff
	s_mul_u64 s[30:31], s[2:3], s[66:67]
	s_and_b32 s16, s36, 0x3ffffff
	s_mov_b32 s17, s19
	s_mul_u64 s[14:15], s[10:11], s[70:71]
	v_readlane_b32 s64, v19, 8
	v_readlane_b32 s65, v19, 9
	s_mul_u64 s[34:35], s[16:17], s[80:81]
	s_and_b32 s8, s28, 0x3ffffff
	s_mov_b32 s9, s19
	s_add_nc_u64 s[14:15], s[14:15], s[30:31]
	v_readlane_b32 s76, v19, 6
	v_readlane_b32 s77, v19, 7
	s_and_b32 s0, s26, 0x3ffffff
	s_mov_b32 s1, s19
	s_mul_u64 s[26:27], s[8:9], s[78:79]
	s_add_nc_u64 s[14:15], s[14:15], s[34:35]
	v_readlane_b32 s74, v19, 4
	v_readlane_b32 s75, v19, 5
	;; [unrolled: 1-line block ×3, first 2 shown]
	s_mul_u64 s[28:29], s[0:1], s[64:65]
	s_and_b32 s12, s12, 0x3ffffff
	s_mov_b32 s13, s19
	s_add_nc_u64 s[14:15], s[14:15], s[26:27]
	v_readlane_b32 s63, v19, 23
	s_mul_u64 s[30:31], s[12:13], s[76:77]
	s_and_b64 s[24:25], s[24:25], 0x3fffff
	s_add_nc_u64 s[14:15], s[14:15], s[28:29]
	v_readlane_b32 s68, v19, 12
	v_readlane_b32 s69, v19, 13
	s_mul_u64 s[26:27], s[24:25], s[74:75]
	s_add_nc_u64 s[14:15], s[14:15], s[30:31]
	v_readlane_b32 s72, v19, 14
	v_readlane_b32 s73, v19, 15
	s_mul_u64 s[4:5], s[6:7], s[62:63]
	s_and_b32 s18, s20, 0x3ffffff
	s_add_nc_u64 s[14:15], s[14:15], s[26:27]
	s_mul_u64 s[20:21], s[18:19], s[68:69]
	s_add_nc_u64 s[4:5], s[14:15], s[4:5]
	s_mul_u64 s[14:15], s[22:23], s[72:73]
	;; [unrolled: 2-line block ×4, first 2 shown]
	s_mul_u64 s[26:27], s[16:17], s[70:71]
	s_add_nc_u64 s[14:15], s[20:21], s[14:15]
	s_mul_u64 s[20:21], s[8:9], s[80:81]
	s_add_nc_u64 s[14:15], s[14:15], s[26:27]
	s_mul_u64 s[26:27], s[0:1], s[78:79]
	s_add_nc_u64 s[14:15], s[14:15], s[20:21]
	s_mul_u64 s[30:31], s[2:3], s[68:69]
	s_mul_u64 s[34:35], s[10:11], s[72:73]
	;; [unrolled: 1-line block ×3, first 2 shown]
	s_add_nc_u64 s[14:15], s[14:15], s[26:27]
	s_mul_u64 s[36:37], s[16:17], s[66:67]
	s_add_nc_u64 s[30:31], s[34:35], s[30:31]
	s_mul_u64 s[26:27], s[24:25], s[76:77]
	;; [unrolled: 2-line block ×7, first 2 shown]
	s_add_nc_u64 s[30:31], s[30:31], s[36:37]
	s_lshr_b64 s[20:21], s[4:5], 26
	s_add_nc_u64 s[14:15], s[14:15], s[26:27]
	s_mul_u64 s[36:37], s[24:25], s[64:65]
	s_add_nc_u64 s[30:31], s[30:31], s[34:35]
	s_add_nc_u64 s[14:15], s[14:15], s[20:21]
	s_mul_u64 s[34:35], s[22:23], s[62:63]
	s_add_nc_u64 s[30:31], s[30:31], s[36:37]
	s_and_b32 s26, s4, 0x3ffffff
	s_and_b32 s4, s14, 0x3ffffff
	s_mov_b32 s5, s19
	s_lshr_b64 s[14:15], s[14:15], 26
	s_add_nc_u64 s[30:31], s[30:31], s[34:35]
	s_mul_u64 s[20:21], s[6:7], s[74:75]
	s_mul_u64 s[28:29], s[4:5], 0x3d10
	;; [unrolled: 1-line block ×3, first 2 shown]
	s_add_nc_u64 s[14:15], s[30:31], s[14:15]
	s_mul_u64 s[30:31], s[18:19], s[74:75]
	s_add_nc_u64 s[28:29], s[28:29], s[20:21]
	s_lshl_b64 s[4:5], s[4:5], 10
	s_add_nc_u64 s[30:31], s[30:31], s[34:35]
	s_lshr_b64 s[20:21], s[28:29], 26
	s_and_b32 s36, s14, 0x3ffffff
	s_mov_b32 s37, s19
	s_add_nc_u64 s[4:5], s[30:31], s[4:5]
	s_mul_u64 s[30:31], s[36:37], 0x3d10
	s_add_nc_u64 s[4:5], s[4:5], s[20:21]
	s_mul_u64 s[34:35], s[10:11], s[68:69]
	;; [unrolled: 2-line block ×3, first 2 shown]
	s_lshl_b64 s[4:5], s[36:37], 10
	s_mul_u64 s[36:37], s[16:17], s[72:73]
	s_add_nc_u64 s[30:31], s[34:35], s[30:31]
	s_mul_u64 s[34:35], s[8:9], s[66:67]
	s_add_nc_u64 s[30:31], s[30:31], s[36:37]
	;; [unrolled: 2-line block ×5, first 2 shown]
	s_lshr_b64 s[14:15], s[14:15], 26
	s_mul_u64 s[34:35], s[6:7], s[64:65]
	s_add_nc_u64 s[30:31], s[30:31], s[36:37]
	s_mul_u64 s[36:37], s[18:19], s[76:77]
	s_add_nc_u64 s[14:15], s[30:31], s[14:15]
	;; [unrolled: 2-line block ×3, first 2 shown]
	s_and_b32 s38, s14, 0x3ffffff
	s_mov_b32 s39, s19
	s_add_nc_u64 s[30:31], s[34:35], s[30:31]
	s_mul_u64 s[34:35], s[38:39], 0x3d10
	s_add_nc_u64 s[4:5], s[30:31], s[4:5]
	s_lshr_b64 s[30:31], s[20:21], 26
	s_add_nc_u64 s[4:5], s[4:5], s[34:35]
	s_mul_u64 s[40:41], s[16:17], s[68:69]
	s_add_nc_u64 s[34:35], s[4:5], s[30:31]
	s_lshl_b64 s[4:5], s[38:39], 10
	s_mul_u64 s[38:39], s[10:11], s[62:63]
	s_mul_u64 s[42:43], s[8:9], s[72:73]
	s_add_nc_u64 s[38:39], s[40:41], s[38:39]
	s_mul_u64 s[40:41], s[0:1], s[66:67]
	s_add_nc_u64 s[38:39], s[38:39], s[42:43]
	;; [unrolled: 2-line block ×5, first 2 shown]
	s_mul_u64 s[40:41], s[2:3], s[74:75]
	s_lshr_b64 s[14:15], s[14:15], 26
	s_mul_u64 s[36:37], s[18:19], s[64:65]
	s_add_nc_u64 s[30:31], s[30:31], s[40:41]
	s_mul_u64 s[44:45], s[16:17], s[62:63]
	s_mul_u64 s[48:49], s[8:9], s[68:69]
	;; [unrolled: 1-line block ×3, first 2 shown]
	s_add_nc_u64 s[14:15], s[38:39], s[14:15]
	s_add_nc_u64 s[30:31], s[30:31], s[36:37]
	s_mul_u64 s[50:51], s[0:1], s[72:73]
	s_add_nc_u64 s[44:45], s[48:49], s[44:45]
	s_and_b32 s38, s14, 0x3ffffff
	s_mov_b32 s39, s19
	s_add_nc_u64 s[30:31], s[30:31], s[42:43]
	s_mul_u64 s[48:49], s[12:13], s[66:67]
	s_add_nc_u64 s[44:45], s[44:45], s[50:51]
	s_mul_u64 s[36:37], s[38:39], 0x3d10
	;; [unrolled: 2-line block ×4, first 2 shown]
	s_lshr_b64 s[30:31], s[34:35], 26
	s_add_nc_u64 s[4:5], s[4:5], s[36:37]
	s_mul_u64 s[36:37], s[6:7], s[80:81]
	s_mul_u64 s[50:51], s[24:25], s[70:71]
	s_add_nc_u64 s[42:43], s[48:49], s[42:43]
	s_lshr_b64 s[14:15], s[14:15], 26
	s_add_nc_u64 s[4:5], s[4:5], s[30:31]
	s_lshl_b64 s[30:31], s[38:39], 10
	s_mul_u64 s[38:39], s[18:19], s[78:79]
	s_add_nc_u64 s[44:45], s[44:45], s[50:51]
	s_add_nc_u64 s[36:37], s[42:43], s[36:37]
	s_mul_u64 s[40:41], s[22:23], s[64:65]
	s_add_nc_u64 s[14:15], s[44:45], s[14:15]
	s_add_nc_u64 s[36:37], s[36:37], s[38:39]
	s_and_b32 s42, s14, 0x3ffffff
	s_mov_b32 s43, s19
	s_add_nc_u64 s[36:37], s[36:37], s[40:41]
	s_mul_u64 s[38:39], s[42:43], 0x3d10
	s_add_nc_u64 s[30:31], s[36:37], s[30:31]
	s_mul_u64 s[44:45], s[2:3], s[64:65]
	s_mul_u64 s[48:49], s[10:11], s[76:77]
	;; [unrolled: 1-line block ×4, first 2 shown]
	s_lshr_b64 s[36:37], s[4:5], 26
	s_add_nc_u64 s[30:31], s[30:31], s[38:39]
	s_mul_u64 s[50:51], s[16:17], s[74:75]
	s_mul_u64 s[56:57], s[12:13], s[72:73]
	s_add_nc_u64 s[52:53], s[54:55], s[52:53]
	s_add_nc_u64 s[44:45], s[48:49], s[44:45]
	s_lshr_b64 s[38:39], s[14:15], 26
	s_add_nc_u64 s[14:15], s[30:31], s[36:37]
	s_mul_u64 s[36:37], s[6:7], s[70:71]
	s_mul_u64 s[54:55], s[24:25], s[66:67]
	s_add_nc_u64 s[52:53], s[52:53], s[56:57]
	s_add_nc_u64 s[44:45], s[44:45], s[50:51]
	s_mul_u64 s[40:41], s[18:19], s[80:81]
	s_add_nc_u64 s[48:49], s[52:53], s[54:55]
	s_add_nc_u64 s[36:37], s[44:45], s[36:37]
	s_lshl_b64 s[30:31], s[42:43], 10
	s_mul_u64 s[42:43], s[22:23], s[78:79]
	s_add_nc_u64 s[38:39], s[48:49], s[38:39]
	s_add_nc_u64 s[36:37], s[36:37], s[40:41]
	s_mul_u64 s[48:49], s[2:3], s[78:79]
	s_mul_u64 s[50:51], s[10:11], s[64:65]
	s_and_b32 s44, s38, 0x3ffffff
	s_mov_b32 s45, s19
	s_add_nc_u64 s[36:37], s[36:37], s[42:43]
	s_mul_u64 s[52:53], s[16:17], s[76:77]
	s_mul_u64 s[56:57], s[0:1], s[62:63]
	s_mul_u64 s[58:59], s[12:13], s[68:69]
	s_add_nc_u64 s[48:49], s[50:51], s[48:49]
	s_mul_u64 s[40:41], s[44:45], 0x3d10
	s_add_nc_u64 s[30:31], s[36:37], s[30:31]
	s_mul_u64 s[54:55], s[8:9], s[74:75]
	s_mul_u64 s[60:61], s[24:25], s[72:73]
	s_add_nc_u64 s[50:51], s[58:59], s[56:57]
	s_add_nc_u64 s[48:49], s[48:49], s[52:53]
	;; [unrolled: 1-line block ×3, first 2 shown]
	s_lshr_b64 s[38:39], s[38:39], 26
	s_mul_u64 s[40:41], s[6:7], s[66:67]
	s_add_nc_u64 s[50:51], s[50:51], s[60:61]
	s_add_nc_u64 s[48:49], s[48:49], s[54:55]
	s_lshr_b64 s[36:37], s[14:15], 26
	s_mul_u64 s[42:43], s[18:19], s[70:71]
	s_add_nc_u64 s[38:39], s[50:51], s[38:39]
	s_add_nc_u64 s[40:41], s[48:49], s[40:41]
	s_mul_u64 s[50:51], s[2:3], s[80:81]
	s_mul_u64 s[52:53], s[10:11], s[78:79]
	s_add_nc_u64 s[36:37], s[30:31], s[36:37]
	s_lshl_b64 s[30:31], s[44:45], 10
	s_mul_u64 s[44:45], s[22:23], s[80:81]
	s_add_nc_u64 s[40:41], s[40:41], s[42:43]
	s_mul_u64 s[54:55], s[16:17], s[64:65]
	s_add_nc_u64 s[50:51], s[52:53], s[50:51]
	s_and_b32 s48, s38, 0x3ffffff
	s_mov_b32 s49, s19
	s_add_nc_u64 s[40:41], s[40:41], s[44:45]
	s_mul_u64 s[56:57], s[8:9], s[76:77]
	s_add_nc_u64 s[50:51], s[50:51], s[54:55]
	s_mul_u64 s[42:43], s[48:49], 0x3d10
	;; [unrolled: 2-line block ×3, first 2 shown]
	s_add_nc_u64 s[50:51], s[50:51], s[56:57]
	s_add_nc_u64 s[30:31], s[30:31], s[42:43]
	s_mul_u64 s[42:43], s[6:7], s[72:73]
	s_mul_u64 s[52:53], s[12:13], s[62:63]
	;; [unrolled: 1-line block ×3, first 2 shown]
	s_add_nc_u64 s[50:51], s[50:51], s[58:59]
	s_mul_u64 s[2:3], s[2:3], s[70:71]
	s_mul_u64 s[10:11], s[10:11], s[80:81]
	s_lshr_b64 s[40:41], s[36:37], 26
	s_lshr_b64 s[38:39], s[38:39], 26
	s_mul_u64 s[44:45], s[18:19], s[66:67]
	s_add_nc_u64 s[52:53], s[54:55], s[52:53]
	s_add_nc_u64 s[42:43], s[50:51], s[42:43]
	s_mul_u64 s[16:17], s[16:17], s[78:79]
	s_add_nc_u64 s[2:3], s[10:11], s[2:3]
	s_add_nc_u64 s[30:31], s[30:31], s[40:41]
	s_lshl_b64 s[40:41], s[48:49], 10
	s_mul_u64 s[48:49], s[22:23], s[70:71]
	s_add_nc_u64 s[38:39], s[52:53], s[38:39]
	s_add_nc_u64 s[42:43], s[42:43], s[44:45]
	s_mul_u64 s[8:9], s[8:9], s[64:65]
	s_add_nc_u64 s[2:3], s[2:3], s[16:17]
	s_and_b32 s50, s38, 0x3ffffff
	s_mov_b32 s51, s19
	s_add_nc_u64 s[42:43], s[42:43], s[48:49]
	s_mul_u64 s[0:1], s[0:1], s[76:77]
	s_add_nc_u64 s[2:3], s[2:3], s[8:9]
	s_mul_u64 s[44:45], s[50:51], 0x3d10
	;; [unrolled: 2-line block ×3, first 2 shown]
	s_add_nc_u64 s[0:1], s[2:3], s[0:1]
	s_lshr_b64 s[42:43], s[30:31], 26
	s_add_nc_u64 s[40:41], s[40:41], s[44:45]
	s_mul_u64 s[6:7], s[6:7], s[68:69]
	s_add_nc_u64 s[0:1], s[0:1], s[8:9]
	s_lshr_b64 s[44:45], s[38:39], 26
	s_add_nc_u64 s[38:39], s[40:41], s[42:43]
	s_mul_u64 s[42:43], s[18:19], s[72:73]
	s_mul_u64 s[8:9], s[24:25], s[62:63]
	s_add_nc_u64 s[0:1], s[0:1], s[6:7]
	s_mul_u64 s[2:3], s[22:23], s[66:67]
	s_add_nc_u64 s[6:7], s[44:45], s[8:9]
	s_add_nc_u64 s[0:1], s[0:1], s[42:43]
	s_lshl_b64 s[40:41], s[50:51], 10
	s_and_b32 s18, s6, 0x3ffffff
	s_add_nc_u64 s[0:1], s[0:1], s[2:3]
	s_mul_u64 s[2:3], s[18:19], 0x3d10
	s_add_nc_u64 s[0:1], s[0:1], s[40:41]
	s_lshr_b64 s[8:9], s[38:39], 26
	s_add_nc_u64 s[0:1], s[0:1], s[2:3]
	s_lshr_b64 s[2:3], s[6:7], 26
	s_mov_b32 s27, s19
	s_add_nc_u64 s[22:23], s[0:1], s[8:9]
	s_mul_u64 s[0:1], s[2:3], 0x3d10
	s_lshl_b64 s[6:7], s[18:19], 10
	s_add_nc_u64 s[0:1], s[0:1], s[26:27]
	s_lshr_b64 s[8:9], s[22:23], 26
	s_add_nc_u64 s[0:1], s[0:1], s[6:7]
	s_lshl_b64 s[2:3], s[2:3], 14
	s_add_nc_u64 s[0:1], s[0:1], s[8:9]
	s_and_b32 s6, s28, 0x3ffffff
	s_lshr_b64 s[8:9], s[0:1], 22
	s_mov_b32 s7, s19
	s_add_nc_u64 s[2:3], s[8:9], s[2:3]
	s_and_b32 s8, s20, 0x3ffffff
	s_mul_u64 s[10:11], s[2:3], 0x3d1
	s_mov_b32 s9, s19
	s_add_nc_u64 s[28:29], s[10:11], s[6:7]
	s_lshl_b64 s[2:3], s[2:3], 6
	s_lshr_b64 s[6:7], s[28:29], 26
	s_add_nc_u64 s[2:3], s[2:3], s[8:9]
	s_and_b32 s8, s34, 0x3ffffff
	s_add_nc_u64 s[20:21], s[2:3], s[6:7]
	s_mov_b32 s33, -1
	s_lshr_b64 s[2:3], s[20:21], 26
	s_delay_alu instid0(SALU_CYCLE_1)
	s_add_nc_u64 s[2:3], s[2:3], s[8:9]
.LBB0_27:                               ; =>This Inner Loop Header: Depth=1
	s_lshl_b32 s26, s4, 1
	s_lshl_b32 s42, s14, 1
	s_and_b64 s[10:11], s[0:1], 0x3fffff
	s_lshl_b32 s6, s28, 1
	s_lshl_b32 s8, s20, 1
	s_and_b32 s12, s22, 0x3ffffff
	s_mov_b32 s13, s19
	s_lshl_b32 s40, s2, 1
	s_mov_b32 s41, s19
	s_and_b32 s16, s38, 0x3ffffff
	s_mov_b32 s17, s19
	s_mov_b32 s23, s19
	s_and_b32 s0, s30, 0x3ffffff
	s_mov_b32 s1, s19
	;; [unrolled: 3-line block ×3, first 2 shown]
	s_and_b64 s[52:53], s[28:29], 0x3ffffff
	s_and_b32 s34, s20, 0x3ffffff
	s_lshl_b32 s20, s36, 1
	s_and_b32 s54, s4, 0x3ffffff
	s_mov_b32 s55, s19
	s_lshl_b32 s28, s30, 1
	s_and_b32 s50, s14, 0x3ffffff
	s_mov_b32 s51, s19
	s_lshl_b32 s30, s22, 1
	s_and_b32 s22, s26, 0x7fffffe
	s_and_b32 s26, s42, 0x7fffffe
	s_mov_b32 s39, s19
	s_lshl_b32 s14, s38, 1
	s_mul_u64 s[72:73], s[16:17], s[40:41]
	s_mul_u64 s[64:65], s[12:13], s[40:41]
	s_mul_u64 s[66:67], s[10:11], s[40:41]
	s_and_b32 s38, s20, 0x7fffffe
	s_mul_u64 s[78:79], s[40:41], s[54:55]
	s_mul_u64 s[80:81], s[50:51], s[40:41]
	;; [unrolled: 1-line block ×7, first 2 shown]
	s_mov_b32 s35, s19
	s_and_b32 s18, s6, 0x7fffffe
	s_mul_u64 s[68:69], s[24:25], s[24:25]
	s_mul_u64 s[92:93], s[0:1], s[26:27]
	s_add_nc_u64 s[80:81], s[80:81], s[82:83]
	s_mul_u64 s[82:83], s[16:17], s[26:27]
	s_add_nc_u64 s[90:91], s[40:41], s[90:91]
	s_mul_u64 s[40:41], s[38:39], s[0:1]
	s_mov_b32 s57, s19
	s_mul_u64 s[70:71], s[34:35], s[34:35]
	s_mul_u64 s[74:75], s[0:1], s[0:1]
	s_and_b32 s56, s28, 0x7fffffe
	s_add_nc_u64 s[92:93], s[92:93], s[68:69]
	s_mul_u64 s[68:69], s[16:17], s[38:39]
	s_add_nc_u64 s[82:83], s[82:83], s[40:41]
	s_mul_u64 s[40:41], s[18:19], s[2:3]
	s_mov_b32 s5, s19
	s_and_b32 s4, s8, 0x7fffffe
	s_add_nc_u64 s[74:75], s[68:69], s[74:75]
	s_mul_u64 s[68:69], s[12:13], s[38:39]
	s_add_nc_u64 s[70:71], s[40:41], s[70:71]
	s_mul_u64 s[40:41], s[56:57], s[16:17]
	s_mul_u64 s[58:59], s[2:3], s[2:3]
	s_add_nc_u64 s[94:95], s[68:69], s[40:41]
	s_mul_u64 s[40:41], s[54:55], s[18:19]
	s_mul_u64 s[2:3], s[4:5], s[2:3]
	;; [unrolled: 1-line block ×3, first 2 shown]
	s_add_nc_u64 s[68:69], s[40:41], s[2:3]
	s_mul_u64 s[2:3], s[12:13], s[56:57]
	s_mov_b32 s61, s19
	s_and_b32 s60, s14, 0x7fffffe
	s_add_nc_u64 s[76:77], s[2:3], s[76:77]
	s_mul_u64 s[2:3], s[54:55], s[4:5]
	s_mul_u64 s[40:41], s[10:11], s[56:57]
	s_add_nc_u64 s[56:57], s[2:3], s[58:59]
	s_mul_u64 s[2:3], s[60:61], s[12:13]
	s_mul_u64 s[84:85], s[12:13], s[12:13]
	;; [unrolled: 3-line block ×3, first 2 shown]
	s_mul_u64 s[60:61], s[24:25], s[4:5]
	s_mul_u64 s[96:97], s[50:51], s[50:51]
	s_add_nc_u64 s[58:59], s[2:3], s[78:79]
	s_add_nc_u64 s[40:41], s[40:41], s[84:85]
	;; [unrolled: 1-line block ×3, first 2 shown]
	s_mul_u64 s[78:79], s[22:23], s[50:51]
	s_mul_u64 s[80:81], s[24:25], s[22:23]
	;; [unrolled: 1-line block ×3, first 2 shown]
	s_add_nc_u64 s[72:73], s[90:91], s[72:73]
	s_mul_u64 s[90:91], s[12:13], s[26:27]
	s_mov_b32 s63, s19
	s_and_b32 s62, s30, 0x7fffffe
	s_add_nc_u64 s[78:79], s[86:87], s[78:79]
	s_add_nc_u64 s[80:81], s[80:81], s[96:97]
	s_mul_u64 s[86:87], s[12:13], s[22:23]
	s_add_nc_u64 s[84:85], s[92:93], s[84:85]
	s_add_nc_u64 s[74:75], s[74:75], s[90:91]
	s_mul_u64 s[90:91], s[12:13], s[4:5]
	s_mul_u64 s[50:51], s[50:51], s[18:19]
	;; [unrolled: 1-line block ×6, first 2 shown]
	s_add_nc_u64 s[82:83], s[82:83], s[86:87]
	s_mul_u64 s[86:87], s[10:11], s[18:19]
	s_mul_u64 s[22:23], s[10:11], s[22:23]
	;; [unrolled: 1-line block ×8, first 2 shown]
	s_add_nc_u64 s[50:51], s[56:57], s[50:51]
	s_add_nc_u64 s[24:25], s[58:59], s[24:25]
	;; [unrolled: 1-line block ×6, first 2 shown]
	s_mul_u64 s[12:13], s[12:13], s[18:19]
	s_add_nc_u64 s[64:65], s[84:85], s[64:65]
	s_add_nc_u64 s[0:1], s[0:1], s[16:17]
	;; [unrolled: 1-line block ×6, first 2 shown]
	s_lshr_b64 s[4:5], s[16:17], 26
	s_mov_b32 s15, s19
	s_add_nc_u64 s[4:5], s[10:11], s[4:5]
	s_add_nc_u64 s[66:67], s[82:83], s[66:67]
	s_and_b32 s14, s4, 0x3ffffff
	s_lshr_b64 s[4:5], s[4:5], 26
	s_mul_u64 s[52:53], s[52:53], s[52:53]
	s_mul_u64 s[10:11], s[14:15], 0x3d10
	s_add_nc_u64 s[4:5], s[66:67], s[4:5]
	s_mul_u64 s[34:35], s[18:19], s[34:35]
	s_add_nc_u64 s[22:23], s[74:75], s[22:23]
	s_lshl_b64 s[14:15], s[14:15], 10
	s_add_nc_u64 s[10:11], s[10:11], s[52:53]
	s_and_b32 s28, s4, 0x3ffffff
	s_lshr_b64 s[4:5], s[4:5], 26
	s_mov_b32 s29, s19
	s_add_nc_u64 s[14:15], s[14:15], s[34:35]
	s_and_b64 s[34:35], s[10:11], 0x3fffffd
	s_lshr_b64 s[10:11], s[10:11], 26
	s_add_nc_u64 s[4:5], s[22:23], s[4:5]
	s_mov_b32 s31, s19
	s_add_nc_u64 s[26:27], s[94:95], s[26:27]
	s_mul_u64 s[52:53], s[28:29], 0x3d10
	s_lshl_b64 s[28:29], s[28:29], 10
	s_add_nc_u64 s[10:11], s[14:15], s[10:11]
	s_and_b32 s30, s4, 0x3ffffff
	s_lshr_b64 s[4:5], s[4:5], 26
	s_add_nc_u64 s[14:15], s[70:71], s[28:29]
	s_add_nc_u64 s[10:11], s[10:11], s[52:53]
	s_mul_u64 s[22:23], s[30:31], 0x3d10
	s_add_nc_u64 s[4:5], s[26:27], s[4:5]
	s_mov_b32 s37, s19
	s_add_nc_u64 s[38:39], s[76:77], s[38:39]
	s_lshl_b64 s[28:29], s[30:31], 10
	s_and_b32 s6, s10, 0x3ffffff
	s_lshr_b64 s[10:11], s[10:11], 26
	s_add_nc_u64 s[14:15], s[14:15], s[22:23]
	s_and_b32 s36, s4, 0x3ffffff
	s_lshr_b64 s[4:5], s[4:5], 26
	s_add_nc_u64 s[22:23], s[68:69], s[28:29]
	s_add_nc_u64 s[10:11], s[14:15], s[10:11]
	s_mul_u64 s[14:15], s[36:37], 0x3d10
	s_add_nc_u64 s[4:5], s[38:39], s[4:5]
	s_mov_b32 s21, s19
	s_lshl_b64 s[26:27], s[36:37], 10
	s_and_b32 s8, s10, 0x3ffffff
	s_lshr_b64 s[10:11], s[10:11], 26
	s_add_nc_u64 s[14:15], s[22:23], s[14:15]
	s_and_b32 s20, s4, 0x3ffffff
	s_lshr_b64 s[22:23], s[4:5], 26
	s_add_nc_u64 s[26:27], s[50:51], s[26:27]
	s_add_nc_u64 s[4:5], s[14:15], s[10:11]
	s_mul_u64 s[10:11], s[20:21], 0x3d10
	s_lshl_b64 s[14:15], s[20:21], 10
	s_add_nc_u64 s[20:21], s[54:55], s[22:23]
	s_mov_b32 s43, s19
	s_lshr_b64 s[22:23], s[4:5], 26
	s_add_nc_u64 s[10:11], s[26:27], s[10:11]
	s_and_b32 s42, s20, 0x3ffffff
	s_lshr_b64 s[20:21], s[20:21], 26
	s_add_nc_u64 s[24:25], s[24:25], s[14:15]
	s_add_nc_u64 s[14:15], s[10:11], s[22:23]
	s_mul_u64 s[10:11], s[42:43], 0x3d10
	s_add_nc_u64 s[20:21], s[40:41], s[20:21]
	s_mov_b32 s45, s19
	s_lshl_b64 s[22:23], s[42:43], 10
	s_lshr_b64 s[26:27], s[14:15], 26
	s_add_nc_u64 s[10:11], s[24:25], s[10:11]
	s_and_b32 s44, s20, 0x3ffffff
	s_lshr_b64 s[20:21], s[20:21], 26
	s_add_nc_u64 s[22:23], s[56:57], s[22:23]
	s_add_nc_u64 s[36:37], s[10:11], s[26:27]
	s_mul_u64 s[10:11], s[44:45], 0x3d10
	s_add_nc_u64 s[20:21], s[20:21], s[62:63]
	s_mov_b32 s49, s19
	s_lshl_b64 s[24:25], s[44:45], 10
	s_lshr_b64 s[26:27], s[36:37], 26
	s_add_nc_u64 s[10:11], s[22:23], s[10:11]
	s_and_b32 s48, s20, 0x3ffffff
	s_lshr_b64 s[20:21], s[20:21], 26
	s_add_nc_u64 s[0:1], s[0:1], s[24:25]
	s_add_nc_u64 s[30:31], s[10:11], s[26:27]
	s_mul_u64 s[10:11], s[48:49], 0x3d10
	s_add_nc_u64 s[2:3], s[20:21], s[2:3]
	s_lshl_b64 s[22:23], s[48:49], 10
	s_lshr_b64 s[20:21], s[30:31], 26
	s_add_nc_u64 s[0:1], s[0:1], s[10:11]
	s_and_b32 s18, s2, 0x3ffffff
	s_lshr_b64 s[2:3], s[2:3], 26
	s_add_nc_u64 s[10:11], s[12:13], s[22:23]
	s_add_nc_u64 s[38:39], s[0:1], s[20:21]
	s_mul_u64 s[0:1], s[18:19], 0x3d10
	s_and_b64 s[16:17], s[16:17], 0x3fffffe
	s_mul_u64 s[20:21], s[2:3], 0x3d10
	s_lshr_b64 s[22:23], s[38:39], 26
	s_add_nc_u64 s[0:1], s[10:11], s[0:1]
	s_lshl_b64 s[12:13], s[18:19], 10
	s_add_nc_u64 s[10:11], s[20:21], s[16:17]
	s_add_nc_u64 s[22:23], s[0:1], s[22:23]
	s_add_nc_u64 s[0:1], s[10:11], s[12:13]
	s_lshr_b64 s[10:11], s[22:23], 26
	s_lshl_b64 s[2:3], s[2:3], 14
	s_add_nc_u64 s[0:1], s[0:1], s[10:11]
	s_mov_b32 s7, s19
	s_lshr_b64 s[10:11], s[0:1], 22
	s_mov_b32 s9, s19
	s_add_nc_u64 s[2:3], s[10:11], s[2:3]
	s_and_b32 vcc_lo, exec_lo, s33
	s_mul_u64 s[10:11], s[2:3], 0x3d1
	s_lshl_b64 s[2:3], s[2:3], 6
	s_add_nc_u64 s[28:29], s[10:11], s[34:35]
	s_add_nc_u64 s[2:3], s[2:3], s[6:7]
	s_lshr_b64 s[6:7], s[28:29], 26
	s_mov_b32 s33, 0
	s_add_nc_u64 s[20:21], s[2:3], s[6:7]
	s_delay_alu instid0(SALU_CYCLE_1) | instskip(NEXT) | instid1(SALU_CYCLE_1)
	s_lshr_b64 s[2:3], s[20:21], 26
	s_add_nc_u64 s[2:3], s[2:3], s[8:9]
	s_cbranch_vccnz .LBB0_27
; %bb.28:
	v_readlane_b32 s72, v19, 28
	v_readlane_b32 s74, v18, 8
	;; [unrolled: 1-line block ×4, first 2 shown]
	s_mov_b32 s7, 0
	v_readlane_b32 s68, v19, 30
	v_readlane_b32 s69, v19, 31
	s_and_b32 s14, s14, 0x3ffffff
	s_mov_b32 s15, s7
	s_and_b32 s4, s4, 0x3ffffff
	s_mov_b32 s5, s7
	s_and_b32 s10, s30, 0x3ffffff
	v_readlane_b32 s66, v18, 2
	s_and_b32 s12, s36, 0x3ffffff
	s_mov_b32 s13, s7
	s_mul_u64 s[18:19], s[14:15], s[72:73]
	s_mul_u64 s[30:31], s[4:5], s[74:75]
	v_readlane_b32 s67, v18, 3
	v_readlane_b32 s64, v18, 4
	s_mov_b32 s11, s7
	s_mul_u64 s[34:35], s[12:13], s[68:69]
	s_add_nc_u64 s[30:31], s[18:19], s[30:31]
	v_readlane_b32 s65, v18, 5
	s_and_b64 s[8:9], s[0:1], 0x3fffff
	s_and_b64 s[0:1], s[22:23], 0x3ffffff
	s_and_b32 s6, s38, 0x3ffffff
	s_mul_u64 s[22:23], s[10:11], s[102:103]
	s_and_b32 s18, s20, 0x3ffffff
	s_add_nc_u64 s[20:21], s[30:31], s[34:35]
	s_mul_u64 s[26:27], s[6:7], s[66:67]
	s_add_nc_u64 s[20:21], s[20:21], s[22:23]
	s_mul_u64 s[24:25], s[0:1], s[64:65]
	s_add_nc_u64 s[20:21], s[20:21], s[26:27]
	v_readlane_b32 s76, v19, 24
	v_readlane_b32 s77, v19, 25
	s_mul_u64 s[16:17], s[8:9], s[100:101]
	s_and_b32 s22, s28, 0x3ffffff
	s_mov_b32 s23, s7
	s_add_nc_u64 s[20:21], s[20:21], s[24:25]
	v_readlane_b32 s70, v19, 26
	v_readlane_b32 s71, v19, 27
	s_mov_b32 s19, s7
	s_mul_u64 s[24:25], s[22:23], s[98:99]
	s_add_nc_u64 s[16:17], s[20:21], s[16:17]
	s_mul_u64 s[20:21], s[18:19], s[76:77]
	s_add_nc_u64 s[16:17], s[16:17], s[24:25]
	;; [unrolled: 2-line block ×4, first 2 shown]
	s_mul_u64 s[24:25], s[4:5], s[70:71]
	s_mul_u64 s[26:27], s[12:13], s[72:73]
	s_add_nc_u64 s[20:21], s[20:21], s[24:25]
	s_mul_u64 s[24:25], s[10:11], s[68:69]
	s_add_nc_u64 s[20:21], s[20:21], s[26:27]
	;; [unrolled: 2-line block ×7, first 2 shown]
	s_lshr_b64 s[24:25], s[16:17], 26
	s_add_nc_u64 s[20:21], s[20:21], s[26:27]
	s_mov_b32 s29, s7
	s_add_nc_u64 s[20:21], s[20:21], s[24:25]
	s_mul_u64 s[24:25], s[22:23], s[100:101]
	s_and_b32 s28, s20, 0x3ffffff
	s_mul_u64 s[34:35], s[4:5], s[76:77]
	s_mul_u64 s[30:31], s[28:29], 0x3d10
	;; [unrolled: 1-line block ×3, first 2 shown]
	s_add_nc_u64 s[24:25], s[30:31], s[24:25]
	s_mul_u64 s[30:31], s[14:15], s[70:71]
	s_and_b32 s26, s16, 0x3ffffff
	s_add_nc_u64 s[30:31], s[30:31], s[34:35]
	s_mul_u64 s[34:35], s[10:11], s[72:73]
	s_add_nc_u64 s[30:31], s[30:31], s[36:37]
	s_mul_u64 s[36:37], s[6:7], s[68:69]
	;; [unrolled: 2-line block ×5, first 2 shown]
	s_add_nc_u64 s[30:31], s[30:31], s[36:37]
	s_lshr_b64 s[16:17], s[20:21], 26
	s_add_nc_u64 s[30:31], s[30:31], s[34:35]
	s_mul_u64 s[34:35], s[18:19], s[100:101]
	s_add_nc_u64 s[16:17], s[30:31], s[16:17]
	s_mul_u64 s[30:31], s[22:23], s[64:65]
	s_lshl_b64 s[28:29], s[28:29], 10
	s_add_nc_u64 s[30:31], s[34:35], s[30:31]
	s_lshr_b64 s[20:21], s[24:25], 26
	s_and_b32 s36, s16, 0x3ffffff
	s_mov_b32 s37, s7
	s_add_nc_u64 s[28:29], s[30:31], s[28:29]
	s_mul_u64 s[30:31], s[36:37], 0x3d10
	s_add_nc_u64 s[20:21], s[28:29], s[20:21]
	s_mul_u64 s[34:35], s[4:5], s[98:99]
	;; [unrolled: 2-line block ×3, first 2 shown]
	s_lshl_b64 s[28:29], s[36:37], 10
	s_mul_u64 s[36:37], s[12:13], s[70:71]
	s_add_nc_u64 s[30:31], s[30:31], s[34:35]
	s_mul_u64 s[34:35], s[10:11], s[74:75]
	s_add_nc_u64 s[30:31], s[30:31], s[36:37]
	;; [unrolled: 2-line block ×5, first 2 shown]
	s_lshr_b64 s[16:17], s[16:17], 26
	s_add_nc_u64 s[30:31], s[30:31], s[36:37]
	s_mul_u64 s[36:37], s[18:19], s[64:65]
	s_add_nc_u64 s[16:17], s[30:31], s[16:17]
	s_mul_u64 s[30:31], s[22:23], s[66:67]
	s_mul_u64 s[34:35], s[2:3], s[100:101]
	s_add_nc_u64 s[30:31], s[36:37], s[30:31]
	s_and_b32 s38, s16, 0x3ffffff
	s_mov_b32 s39, s7
	s_add_nc_u64 s[30:31], s[30:31], s[34:35]
	s_mul_u64 s[34:35], s[38:39], 0x3d10
	s_add_nc_u64 s[28:29], s[30:31], s[28:29]
	s_lshr_b64 s[30:31], s[20:21], 26
	s_add_nc_u64 s[28:29], s[28:29], s[34:35]
	s_mul_u64 s[40:41], s[14:15], s[98:99]
	s_add_nc_u64 s[28:29], s[28:29], s[30:31]
	s_lshl_b64 s[30:31], s[38:39], 10
	s_mul_u64 s[38:39], s[12:13], s[76:77]
	s_mul_u64 s[42:43], s[10:11], s[70:71]
	s_add_nc_u64 s[38:39], s[38:39], s[40:41]
	s_mul_u64 s[40:41], s[6:7], s[74:75]
	s_add_nc_u64 s[38:39], s[38:39], s[42:43]
	;; [unrolled: 2-line block ×4, first 2 shown]
	s_lshr_b64 s[16:17], s[16:17], 26
	s_mul_u64 s[34:35], s[4:5], s[100:101]
	s_add_nc_u64 s[38:39], s[38:39], s[40:41]
	s_mul_u64 s[40:41], s[22:23], s[102:103]
	s_mul_u64 s[42:43], s[18:19], s[66:67]
	s_add_nc_u64 s[38:39], s[38:39], s[16:17]
	s_add_nc_u64 s[16:17], s[40:41], s[34:35]
	s_mul_u64 s[36:37], s[2:3], s[64:65]
	s_add_nc_u64 s[16:17], s[16:17], s[42:43]
	s_and_b32 s34, s38, 0x3ffffff
	s_mov_b32 s35, s7
	s_add_nc_u64 s[16:17], s[16:17], s[36:37]
	s_mul_u64 s[48:49], s[10:11], s[76:77]
	s_mul_u64 s[50:51], s[12:13], s[98:99]
	s_mul_u64 s[36:37], s[34:35], 0x3d10
	s_add_nc_u64 s[16:17], s[16:17], s[30:31]
	s_mul_u64 s[52:53], s[6:7], s[70:71]
	s_add_nc_u64 s[48:49], s[48:49], s[50:51]
	s_add_nc_u64 s[16:17], s[16:17], s[36:37]
	s_lshr_b64 s[36:37], s[38:39], 26
	s_mul_u64 s[38:39], s[14:15], s[100:101]
	s_mul_u64 s[40:41], s[4:5], s[64:65]
	;; [unrolled: 1-line block ×3, first 2 shown]
	s_add_nc_u64 s[48:49], s[48:49], s[52:53]
	s_mul_u64 s[52:53], s[8:9], s[72:73]
	s_add_nc_u64 s[48:49], s[48:49], s[50:51]
	s_mul_u64 s[50:51], s[22:23], s[68:69]
	;; [unrolled: 2-line block ×3, first 2 shown]
	s_add_nc_u64 s[48:49], s[48:49], s[52:53]
	s_add_nc_u64 s[38:39], s[38:39], s[50:51]
	s_mul_u64 s[42:43], s[2:3], s[66:67]
	s_add_nc_u64 s[36:37], s[48:49], s[36:37]
	s_add_nc_u64 s[38:39], s[38:39], s[44:45]
	s_lshl_b64 s[34:35], s[34:35], 10
	s_and_b32 s40, s36, 0x3ffffff
	s_mov_b32 s41, s7
	s_add_nc_u64 s[38:39], s[38:39], s[42:43]
	s_mul_u64 s[42:43], s[40:41], 0x3d10
	s_add_nc_u64 s[34:35], s[38:39], s[34:35]
	s_mul_u64 s[44:45], s[4:5], s[66:67]
	;; [unrolled: 2-line block ×3, first 2 shown]
	s_mul_u64 s[54:55], s[6:7], s[76:77]
	s_mul_u64 s[56:57], s[10:11], s[98:99]
	s_lshl_b64 s[38:39], s[40:41], 10
	s_mul_u64 s[40:41], s[12:13], s[100:101]
	s_mul_u64 s[58:59], s[0:1], s[70:71]
	s_add_nc_u64 s[54:55], s[54:55], s[56:57]
	s_add_nc_u64 s[42:43], s[42:43], s[44:45]
	s_mul_u64 s[52:53], s[22:23], s[72:73]
	s_mul_u64 s[56:57], s[8:9], s[74:75]
	s_add_nc_u64 s[54:55], s[54:55], s[58:59]
	s_add_nc_u64 s[40:41], s[42:43], s[40:41]
	s_lshr_b64 s[36:37], s[36:37], 26
	s_mul_u64 s[50:51], s[18:19], s[68:69]
	s_add_nc_u64 s[44:45], s[54:55], s[56:57]
	s_add_nc_u64 s[40:41], s[40:41], s[52:53]
	s_mul_u64 s[48:49], s[2:3], s[102:103]
	s_add_nc_u64 s[36:37], s[44:45], s[36:37]
	s_add_nc_u64 s[40:41], s[40:41], s[50:51]
	s_and_b32 s42, s36, 0x3ffffff
	s_mov_b32 s43, s7
	s_add_nc_u64 s[40:41], s[40:41], s[48:49]
	s_mul_u64 s[44:45], s[42:43], 0x3d10
	s_add_nc_u64 s[38:39], s[40:41], s[38:39]
	s_mul_u64 s[48:49], s[14:15], s[66:67]
	s_mul_u64 s[50:51], s[4:5], s[102:103]
	s_lshr_b64 s[40:41], s[36:37], 26
	s_add_nc_u64 s[36:37], s[38:39], s[44:45]
	s_mul_u64 s[44:45], s[12:13], s[64:65]
	s_add_nc_u64 s[48:49], s[48:49], s[50:51]
	s_lshl_b64 s[38:39], s[42:43], 10
	s_mul_u64 s[42:43], s[10:11], s[100:101]
	s_mul_u64 s[60:61], s[0:1], s[76:77]
	;; [unrolled: 1-line block ×3, first 2 shown]
	s_add_nc_u64 s[44:45], s[48:49], s[44:45]
	s_mul_u64 s[56:57], s[22:23], s[74:75]
	s_mul_u64 s[58:59], s[8:9], s[70:71]
	s_add_nc_u64 s[50:51], s[60:61], s[62:63]
	s_add_nc_u64 s[42:43], s[44:45], s[42:43]
	s_mul_u64 s[54:55], s[18:19], s[72:73]
	s_add_nc_u64 s[48:49], s[50:51], s[58:59]
	s_add_nc_u64 s[42:43], s[42:43], s[56:57]
	;; [unrolled: 3-line block ×3, first 2 shown]
	s_and_b32 s44, s40, 0x3ffffff
	s_mov_b32 s45, s7
	s_add_nc_u64 s[42:43], s[42:43], s[52:53]
	s_mul_u64 s[52:53], s[14:15], s[102:103]
	s_mul_u64 s[54:55], s[4:5], s[68:69]
	;; [unrolled: 1-line block ×3, first 2 shown]
	s_add_nc_u64 s[38:39], s[42:43], s[38:39]
	s_mul_u64 s[50:51], s[12:13], s[66:67]
	s_add_nc_u64 s[52:53], s[52:53], s[54:55]
	s_add_nc_u64 s[38:39], s[38:39], s[48:49]
	s_mul_u64 s[48:49], s[10:11], s[64:65]
	s_add_nc_u64 s[50:51], s[52:53], s[50:51]
	s_lshl_b64 s[42:43], s[44:45], 10
	s_mul_u64 s[44:45], s[6:7], s[100:101]
	s_add_nc_u64 s[48:49], s[50:51], s[48:49]
	s_mul_u64 s[60:61], s[22:23], s[70:71]
	s_mul_u64 s[54:55], s[8:9], s[76:77]
	;; [unrolled: 1-line block ×3, first 2 shown]
	s_add_nc_u64 s[44:45], s[48:49], s[44:45]
	s_lshr_b64 s[40:41], s[40:41], 26
	s_mul_u64 s[58:59], s[18:19], s[74:75]
	s_add_nc_u64 s[50:51], s[54:55], s[52:53]
	s_add_nc_u64 s[44:45], s[44:45], s[60:61]
	s_mul_u64 s[56:57], s[2:3], s[72:73]
	s_add_nc_u64 s[40:41], s[50:51], s[40:41]
	s_add_nc_u64 s[44:45], s[44:45], s[58:59]
	s_and_b32 s48, s40, 0x3ffffff
	s_mov_b32 s49, s7
	s_add_nc_u64 s[44:45], s[44:45], s[56:57]
	s_mul_u64 s[14:15], s[14:15], s[68:69]
	s_mul_u64 s[4:5], s[4:5], s[72:73]
	;; [unrolled: 1-line block ×3, first 2 shown]
	s_add_nc_u64 s[42:43], s[44:45], s[42:43]
	s_mul_u64 s[12:13], s[12:13], s[102:103]
	s_add_nc_u64 s[4:5], s[14:15], s[4:5]
	s_lshr_b64 s[30:31], s[28:29], 26
	s_lshr_b64 s[40:41], s[40:41], 26
	s_add_nc_u64 s[42:43], s[42:43], s[50:51]
	s_mul_u64 s[10:11], s[10:11], s[66:67]
	s_mul_u64 s[50:51], s[2:3], s[74:75]
	;; [unrolled: 1-line block ×3, first 2 shown]
	s_add_nc_u64 s[4:5], s[4:5], s[12:13]
	s_add_nc_u64 s[16:17], s[16:17], s[30:31]
	s_lshl_b64 s[44:45], s[48:49], 10
	s_mul_u64 s[48:49], s[6:7], s[64:65]
	s_add_nc_u64 s[2:3], s[40:41], s[2:3]
	s_add_nc_u64 s[4:5], s[4:5], s[10:11]
	s_lshr_b64 s[30:31], s[16:17], 26
	s_mul_u64 s[0:1], s[0:1], s[100:101]
	s_and_b32 s6, s2, 0x3ffffff
	s_lshr_b64 s[8:9], s[2:3], 26
	s_add_nc_u64 s[2:3], s[4:5], s[48:49]
	s_mul_u64 s[22:23], s[22:23], s[76:77]
	s_add_nc_u64 s[0:1], s[2:3], s[0:1]
	s_add_nc_u64 s[2:3], s[34:35], s[30:31]
	s_mul_u64 s[18:19], s[18:19], s[70:71]
	s_add_nc_u64 s[0:1], s[0:1], s[22:23]
	s_lshr_b64 s[10:11], s[2:3], 26
	s_add_nc_u64 s[0:1], s[0:1], s[18:19]
	s_add_nc_u64 s[10:11], s[36:37], s[10:11]
	;; [unrolled: 1-line block ×3, first 2 shown]
	s_lshr_b64 s[12:13], s[10:11], 26
	s_mul_u64 s[4:5], s[6:7], 0x3d10
	s_add_nc_u64 s[0:1], s[0:1], s[44:45]
	s_add_nc_u64 s[12:13], s[38:39], s[12:13]
	;; [unrolled: 1-line block ×3, first 2 shown]
	s_lshr_b64 s[4:5], s[12:13], 26
	s_mov_b32 s27, s7
	s_add_nc_u64 s[18:19], s[42:43], s[4:5]
	s_mul_u64 s[4:5], s[8:9], 0x3d10
	s_lshr_b64 s[22:23], s[18:19], 26
	s_lshl_b64 s[14:15], s[6:7], 10
	s_add_nc_u64 s[4:5], s[4:5], s[26:27]
	s_add_nc_u64 s[22:23], s[0:1], s[22:23]
	;; [unrolled: 1-line block ×3, first 2 shown]
	s_lshr_b64 s[4:5], s[22:23], 26
	s_and_b32 s14, s24, 0x3ffffff
	s_add_nc_u64 s[24:25], s[0:1], s[4:5]
	s_lshl_b64 s[0:1], s[8:9], 14
	s_lshr_b64 s[4:5], s[24:25], 22
	s_mov_b32 s15, s7
	s_add_nc_u64 s[4:5], s[4:5], s[0:1]
	s_and_b32 s6, s20, 0x3ffffff
	s_mul_u64 s[0:1], s[4:5], 0x3d1
	s_lshl_b64 s[4:5], s[4:5], 6
	s_add_nc_u64 s[0:1], s[0:1], s[14:15]
	s_add_nc_u64 s[4:5], s[4:5], s[6:7]
	s_lshr_b64 s[8:9], s[0:1], 26
	s_lshr_b32 s13, s2, 16
	s_add_nc_u64 s[4:5], s[4:5], s[8:9]
	s_lshl_b32 s11, s12, 4
	s_bfe_u32 s14, s10, 0x40016
	s_and_b32 s13, s13, 0x300
	s_lshl_b32 s15, s10, 10
	s_lshr_b64 s[6:7], s[4:5], 26
	v_dual_mov_b32 v0, 0 :: v_dual_mov_b32 v1, 0xc0c0004
	s_and_b32 s1, s28, 0x3ffffff
	s_lshl_b32 s5, s24, 2
	s_bfe_u32 s7, s22, 0x20018
	s_or_b32 s14, s11, s14
	s_or_b32 s13, s15, s13
	s_bfe_u32 s15, s10, 0x80006
	s_lshr_b32 s10, s10, 6
	s_add_co_i32 s1, s6, s1
	s_or_b32 s9, s5, s7
	s_lshr_b64 s[6:7], s[22:23], 16
	s_or_b32 s13, s15, s13
	s_and_b32 s14, s14, 0xff
	s_and_b32 s10, s10, 0xff00
	;; [unrolled: 1-line block ×3, first 2 shown]
	s_lshr_b32 s7, s18, 2
	s_and_b32 s11, s11, 0xff00
	s_bfe_u32 s12, s12, 0x8000c
	s_lshl_b32 s13, s13, 16
	s_or_b32 s10, s14, s10
	s_bfe_u32 s14, s22, 0x80008
	s_or_b32 s11, s12, s11
	s_and_b32 s7, s7, 0xff00
	s_bfe_u32 s12, s18, 0x80012
	v_perm_b32 v1, s9, s6, v1
	s_lshl_b32 s6, s22, 8
	s_or_b32 s10, s10, s13
	s_lshr_b32 s3, s3, 12
	s_lshl_b32 s13, s18, 14
	s_or_b32 s7, s12, s7
	s_or_b32 s6, s14, s6
	;; [unrolled: 1-line block ×3, first 2 shown]
	s_bfe_u32 s13, s18, 0x80002
	s_lshl_b32 s7, s7, 16
	s_and_b32 s6, s6, 0xffff
	s_or_b32 s3, s13, s3
	s_or_b32 s6, s6, s7
	s_delay_alu instid0(SALU_CYCLE_1)
	v_dual_lshlrev_b32 v1, 16, v1 :: v_dual_mov_b32 v3, s6
	s_lshl_b32 s11, s11, 16
	s_and_b32 s3, s3, 0xffff
	s_and_b32 s5, s5, 0xff00
	s_bfe_u32 s9, s24, 0x8000e
	s_or_b32 s3, s3, s11
	s_or_b32 s5, s9, s5
	s_delay_alu instid0(SALU_CYCLE_1)
	v_dual_mov_b32 v4, s3 :: v_dual_bitop2_b32 v2, s5, v1 bitop3:0x54
	s_lshl_b32 s3, s16, 6
	s_and_b32 s6, s2, 0xff
	s_and_b32 s7, s2, 0xffffff00
	s_bfe_u32 s2, s2, 0x80010
	s_and_b32 s8, s4, 0x3c00000
	s_and_b32 s5, s3, 0xff000000
	s_lshl_b32 s6, s6, 16
	s_or_b32 s2, s2, s7
	s_or_b32 s5, s5, s6
	s_and_b32 s2, s2, 0xffff
	s_bfe_u32 s6, s1, 0x60014
	s_lshl_b32 s7, s4, 2
	s_lshr_b32 s8, s8, 14
	s_lshl_b32 s11, s1, 12
	v_mov_b32_e32 v5, s10
	s_or_b32 s2, s2, s5
	s_or_b32 s5, s6, s3
	s_lshr_b32 s6, s1, 4
	s_and_b32 s10, s7, 0xff00
	s_bfe_u32 s4, s4, 0x8000e
	s_or_b32 s8, s11, s8
	s_bfe_u32 s1, s1, 0x80004
	s_or_b32 s4, s4, s10
	s_or_b32 s1, s1, s8
	v_dual_mov_b32 v1, 0xc0c0204 :: v_dual_mov_b32 v6, s2
	s_bfe_u32 s9, s0, 0x20018
	s_lshl_b32 s4, s4, 16
	s_and_b32 s1, s1, 0xffff
	s_or_b32 s7, s7, s9
	s_or_b32 s1, s1, s4
	s_lshl_b32 s4, s0, 8
	v_perm_b32 v1, s7, s0, v1
	s_lshl_b32 s0, s0, 24
	s_and_b32 s4, s4, 0xff0000
	s_and_b32 s6, s6, 0xff00
	;; [unrolled: 1-line block ×3, first 2 shown]
	s_or_b32 s0, s0, s4
	s_or_b32 s4, s5, s6
	s_and_b32 s3, s3, 0xff00
	s_bfe_u32 s5, s16, 0x8000a
	s_lshl_b32 s4, s4, 16
	s_or_b32 s3, s5, s3
	v_or_b32_e32 v9, s0, v1
	s_or_b32 s0, s3, s4
	s_delay_alu instid0(SALU_CYCLE_1)
	v_dual_mov_b32 v8, s1 :: v_dual_mov_b32 v7, s0
	s_clause 0x1
	global_store_b128 v0, v[2:5], s[46:47]
	global_store_b128 v0, v[6:9], s[46:47] offset:16
	s_endpgm
	.section	.rodata,"a",@progbits
	.p2align	6, 0x0
	.amdhsa_kernel _Z9secp256k1PK20secp256k1_ge_storagePh
		.amdhsa_group_segment_fixed_size 0
		.amdhsa_private_segment_fixed_size 0
		.amdhsa_kernarg_size 16
		.amdhsa_user_sgpr_count 2
		.amdhsa_user_sgpr_dispatch_ptr 0
		.amdhsa_user_sgpr_queue_ptr 0
		.amdhsa_user_sgpr_kernarg_segment_ptr 1
		.amdhsa_user_sgpr_dispatch_id 0
		.amdhsa_user_sgpr_kernarg_preload_length 0
		.amdhsa_user_sgpr_kernarg_preload_offset 0
		.amdhsa_user_sgpr_private_segment_size 0
		.amdhsa_wavefront_size32 1
		.amdhsa_uses_dynamic_stack 0
		.amdhsa_enable_private_segment 0
		.amdhsa_system_sgpr_workgroup_id_x 1
		.amdhsa_system_sgpr_workgroup_id_y 0
		.amdhsa_system_sgpr_workgroup_id_z 0
		.amdhsa_system_sgpr_workgroup_info 0
		.amdhsa_system_vgpr_workitem_id 0
		.amdhsa_next_free_vgpr 20
		.amdhsa_next_free_sgpr 105
		.amdhsa_named_barrier_count 0
		.amdhsa_reserve_vcc 1
		.amdhsa_float_round_mode_32 0
		.amdhsa_float_round_mode_16_64 0
		.amdhsa_float_denorm_mode_32 3
		.amdhsa_float_denorm_mode_16_64 3
		.amdhsa_fp16_overflow 0
		.amdhsa_memory_ordered 1
		.amdhsa_forward_progress 1
		.amdhsa_inst_pref_size 255
		.amdhsa_round_robin_scheduling 0
		.amdhsa_exception_fp_ieee_invalid_op 0
		.amdhsa_exception_fp_denorm_src 0
		.amdhsa_exception_fp_ieee_div_zero 0
		.amdhsa_exception_fp_ieee_overflow 0
		.amdhsa_exception_fp_ieee_underflow 0
		.amdhsa_exception_fp_ieee_inexact 0
		.amdhsa_exception_int_div_zero 0
	.end_amdhsa_kernel
	.text
.Lfunc_end0:
	.size	_Z9secp256k1PK20secp256k1_ge_storagePh, .Lfunc_end0-_Z9secp256k1PK20secp256k1_ge_storagePh
                                        ; -- End function
	.set _Z9secp256k1PK20secp256k1_ge_storagePh.num_vgpr, 20
	.set _Z9secp256k1PK20secp256k1_ge_storagePh.num_agpr, 0
	.set _Z9secp256k1PK20secp256k1_ge_storagePh.numbered_sgpr, 105
	.set _Z9secp256k1PK20secp256k1_ge_storagePh.num_named_barrier, 0
	.set _Z9secp256k1PK20secp256k1_ge_storagePh.private_seg_size, 0
	.set _Z9secp256k1PK20secp256k1_ge_storagePh.uses_vcc, 1
	.set _Z9secp256k1PK20secp256k1_ge_storagePh.uses_flat_scratch, 0
	.set _Z9secp256k1PK20secp256k1_ge_storagePh.has_dyn_sized_stack, 0
	.set _Z9secp256k1PK20secp256k1_ge_storagePh.has_recursion, 0
	.set _Z9secp256k1PK20secp256k1_ge_storagePh.has_indirect_call, 0
	.section	.AMDGPU.csdata,"",@progbits
; Kernel info:
; codeLenInByte = 71300
; TotalNumSgprs: 107
; NumVgprs: 20
; ScratchSize: 0
; MemoryBound: 0
; FloatMode: 240
; IeeeMode: 1
; LDSByteSize: 0 bytes/workgroup (compile time only)
; SGPRBlocks: 0
; VGPRBlocks: 1
; NumSGPRsForWavesPerEU: 107
; NumVGPRsForWavesPerEU: 20
; NamedBarCnt: 0
; Occupancy: 16
; WaveLimiterHint : 0
; COMPUTE_PGM_RSRC2:SCRATCH_EN: 0
; COMPUTE_PGM_RSRC2:USER_SGPR: 2
; COMPUTE_PGM_RSRC2:TRAP_HANDLER: 0
; COMPUTE_PGM_RSRC2:TGID_X_EN: 1
; COMPUTE_PGM_RSRC2:TGID_Y_EN: 0
; COMPUTE_PGM_RSRC2:TGID_Z_EN: 0
; COMPUTE_PGM_RSRC2:TIDIG_COMP_CNT: 0
	.text
	.p2alignl 7, 3214868480
	.fill 96, 4, 3214868480
	.section	.AMDGPU.gpr_maximums,"",@progbits
	.set amdgpu.max_num_vgpr, 0
	.set amdgpu.max_num_agpr, 0
	.set amdgpu.max_num_sgpr, 0
	.text
	.type	__hip_cuid_8677cd925d0eded5,@object ; @__hip_cuid_8677cd925d0eded5
	.section	.bss,"aw",@nobits
	.globl	__hip_cuid_8677cd925d0eded5
__hip_cuid_8677cd925d0eded5:
	.byte	0                               ; 0x0
	.size	__hip_cuid_8677cd925d0eded5, 1

	.ident	"AMD clang version 22.0.0git (https://github.com/RadeonOpenCompute/llvm-project roc-7.2.4 26084 f58b06dce1f9c15707c5f808fd002e18c2accf7e)"
	.section	".note.GNU-stack","",@progbits
	.addrsig
	.addrsig_sym __hip_cuid_8677cd925d0eded5
	.amdgpu_metadata
---
amdhsa.kernels:
  - .args:
      - .address_space:  global
        .offset:         0
        .size:           8
        .value_kind:     global_buffer
      - .address_space:  global
        .offset:         8
        .size:           8
        .value_kind:     global_buffer
    .group_segment_fixed_size: 0
    .kernarg_segment_align: 8
    .kernarg_segment_size: 16
    .language:       OpenCL C
    .language_version:
      - 2
      - 0
    .max_flat_workgroup_size: 1024
    .name:           _Z9secp256k1PK20secp256k1_ge_storagePh
    .private_segment_fixed_size: 0
    .sgpr_count:     107
    .sgpr_spill_count: 498
    .symbol:         _Z9secp256k1PK20secp256k1_ge_storagePh.kd
    .uniform_work_group_size: 1
    .uses_dynamic_stack: false
    .vgpr_count:     20
    .vgpr_spill_count: 0
    .wavefront_size: 32
amdhsa.target:   amdgcn-amd-amdhsa--gfx1250
amdhsa.version:
  - 1
  - 2
...

	.end_amdgpu_metadata
